;; amdgpu-corpus repo=ROCm/rocFFT kind=compiled arch=gfx906 opt=O3
	.text
	.amdgcn_target "amdgcn-amd-amdhsa--gfx906"
	.amdhsa_code_object_version 6
	.protected	bluestein_single_fwd_len330_dim1_sp_op_CI_CI ; -- Begin function bluestein_single_fwd_len330_dim1_sp_op_CI_CI
	.globl	bluestein_single_fwd_len330_dim1_sp_op_CI_CI
	.p2align	8
	.type	bluestein_single_fwd_len330_dim1_sp_op_CI_CI,@function
bluestein_single_fwd_len330_dim1_sp_op_CI_CI: ; @bluestein_single_fwd_len330_dim1_sp_op_CI_CI
; %bb.0:
	v_mul_u32_u24_e32 v1, 0x7c2, v0
	s_load_dwordx4 s[0:3], s[4:5], 0x28
	v_lshrrev_b32_e32 v1, 16, v1
	v_mad_u64_u32 v[58:59], s[6:7], s6, 3, v[1:2]
	v_mov_b32_e32 v59, 0
	s_waitcnt lgkmcnt(0)
	v_cmp_gt_u64_e32 vcc, s[0:1], v[58:59]
	s_and_saveexec_b64 s[0:1], vcc
	s_cbranch_execz .LBB0_23
; %bb.1:
	s_mov_b32 s0, 0xaaaaaaab
	v_mul_hi_u32 v2, v58, s0
	v_mul_lo_u16_e32 v1, 33, v1
	s_load_dwordx2 s[6:7], s[4:5], 0x0
	s_load_dwordx2 s[12:13], s[4:5], 0x38
	v_sub_u16_e32 v62, v0, v1
	v_lshrrev_b32_e32 v0, 1, v2
	v_lshl_add_u32 v0, v0, 1, v0
	v_sub_u32_e32 v0, v58, v0
	v_mul_u32_u24_e32 v63, 0x14a, v0
	v_cmp_gt_u16_e64 s[0:1], 30, v62
	v_lshlrev_b32_e32 v61, 3, v62
	v_lshlrev_b32_e32 v64, 3, v63
	s_and_saveexec_b64 s[8:9], s[0:1]
	s_cbranch_execz .LBB0_3
; %bb.2:
	s_load_dwordx2 s[10:11], s[4:5], 0x18
	v_lshl_add_u32 v46, v62, 3, v64
	s_waitcnt lgkmcnt(0)
	s_load_dwordx4 s[16:19], s[10:11], 0x0
	s_waitcnt lgkmcnt(0)
	v_mad_u64_u32 v[0:1], s[10:11], s18, v58, 0
	v_mad_u64_u32 v[2:3], s[10:11], s16, v62, 0
	;; [unrolled: 1-line block ×4, first 2 shown]
	v_mov_b32_e32 v1, v4
	v_lshlrev_b64 v[0:1], 3, v[0:1]
	v_mov_b32_e32 v3, v5
	v_mov_b32_e32 v6, s3
	v_lshlrev_b64 v[2:3], 3, v[2:3]
	v_add_co_u32_e32 v0, vcc, s2, v0
	v_addc_co_u32_e32 v1, vcc, v6, v1, vcc
	v_add_co_u32_e32 v0, vcc, v0, v2
	s_mul_i32 s2, s17, 0xf0
	s_mul_hi_u32 s3, s16, 0xf0
	v_addc_co_u32_e32 v1, vcc, v1, v3, vcc
	s_add_i32 s2, s3, s2
	s_mul_i32 s3, s16, 0xf0
	v_mov_b32_e32 v3, s2
	v_add_co_u32_e32 v2, vcc, s3, v0
	v_addc_co_u32_e32 v3, vcc, v1, v3, vcc
	v_mov_b32_e32 v5, s2
	v_add_co_u32_e32 v4, vcc, s3, v2
	v_addc_co_u32_e32 v5, vcc, v3, v5, vcc
	;; [unrolled: 3-line block ×3, first 2 shown]
	global_load_dwordx2 v[8:9], v[0:1], off
	global_load_dwordx2 v[10:11], v[2:3], off
	;; [unrolled: 1-line block ×4, first 2 shown]
	global_load_dwordx2 v[16:17], v61, s[6:7]
	global_load_dwordx2 v[18:19], v61, s[6:7] offset:240
	global_load_dwordx2 v[20:21], v61, s[6:7] offset:480
	;; [unrolled: 1-line block ×3, first 2 shown]
	v_mov_b32_e32 v1, s2
	v_add_co_u32_e32 v0, vcc, s3, v6
	v_addc_co_u32_e32 v1, vcc, v7, v1, vcc
	global_load_dwordx2 v[2:3], v[0:1], off
	global_load_dwordx2 v[4:5], v61, s[6:7] offset:960
	v_mov_b32_e32 v6, s2
	v_add_co_u32_e32 v0, vcc, s3, v0
	v_addc_co_u32_e32 v1, vcc, v1, v6, vcc
	global_load_dwordx2 v[6:7], v[0:1], off
	v_mov_b32_e32 v24, s2
	v_add_co_u32_e32 v0, vcc, s3, v0
	v_addc_co_u32_e32 v1, vcc, v1, v24, vcc
	global_load_dwordx2 v[24:25], v[0:1], off
	v_mov_b32_e32 v26, s2
	v_add_co_u32_e32 v0, vcc, s3, v0
	v_addc_co_u32_e32 v1, vcc, v1, v26, vcc
	global_load_dwordx2 v[26:27], v[0:1], off
	global_load_dwordx2 v[28:29], v61, s[6:7] offset:1200
	global_load_dwordx2 v[30:31], v61, s[6:7] offset:1440
	;; [unrolled: 1-line block ×3, first 2 shown]
	v_mov_b32_e32 v34, s2
	v_add_co_u32_e32 v0, vcc, s3, v0
	v_addc_co_u32_e32 v1, vcc, v1, v34, vcc
	global_load_dwordx2 v[34:35], v[0:1], off
	v_mov_b32_e32 v36, s2
	v_add_co_u32_e32 v0, vcc, s3, v0
	v_addc_co_u32_e32 v1, vcc, v1, v36, vcc
	global_load_dwordx2 v[36:37], v61, s[6:7] offset:1920
	global_load_dwordx2 v[38:39], v[0:1], off
	global_load_dwordx2 v[40:41], v61, s[6:7] offset:2160
	v_mov_b32_e32 v42, s2
	v_add_co_u32_e32 v0, vcc, s3, v0
	v_addc_co_u32_e32 v1, vcc, v1, v42, vcc
	global_load_dwordx2 v[42:43], v61, s[6:7] offset:2400
	global_load_dwordx2 v[44:45], v[0:1], off
	s_waitcnt vmcnt(17)
	v_mul_f32_e32 v0, v9, v17
	v_mul_f32_e32 v1, v8, v17
	v_fmac_f32_e32 v0, v8, v16
	v_fma_f32 v1, v9, v16, -v1
	ds_write_b64 v46, v[0:1]
	s_waitcnt vmcnt(16)
	v_mul_f32_e32 v0, v11, v19
	v_mul_f32_e32 v1, v10, v19
	s_waitcnt vmcnt(15)
	v_mul_f32_e32 v8, v13, v21
	v_mul_f32_e32 v9, v12, v21
	v_fmac_f32_e32 v0, v10, v18
	v_add_u32_e32 v16, v64, v61
	v_fma_f32 v1, v11, v18, -v1
	v_fmac_f32_e32 v8, v12, v20
	v_fma_f32 v9, v13, v20, -v9
	ds_write2_b64 v16, v[0:1], v[8:9] offset0:30 offset1:60
	s_waitcnt vmcnt(12)
	v_mul_f32_e32 v8, v3, v5
	v_mul_f32_e32 v0, v15, v23
	;; [unrolled: 1-line block ×3, first 2 shown]
	v_fmac_f32_e32 v8, v2, v4
	v_mul_f32_e32 v2, v2, v5
	v_fmac_f32_e32 v0, v14, v22
	v_fma_f32 v1, v15, v22, -v1
	v_fma_f32 v9, v3, v4, -v2
	ds_write2_b64 v16, v[0:1], v[8:9] offset0:90 offset1:120
	v_add_u32_e32 v4, 0x800, v16
	s_waitcnt vmcnt(8)
	v_mul_f32_e32 v0, v7, v29
	v_mul_f32_e32 v1, v6, v29
	s_waitcnt vmcnt(7)
	v_mul_f32_e32 v2, v25, v31
	v_mul_f32_e32 v3, v24, v31
	v_fmac_f32_e32 v0, v6, v28
	v_fma_f32 v1, v7, v28, -v1
	v_fmac_f32_e32 v2, v24, v30
	v_fma_f32 v3, v25, v30, -v3
	ds_write2_b64 v16, v[0:1], v[2:3] offset0:150 offset1:180
	s_waitcnt vmcnt(6)
	v_mul_f32_e32 v0, v27, v33
	v_mul_f32_e32 v1, v26, v33
	v_fmac_f32_e32 v0, v26, v32
	s_waitcnt vmcnt(4)
	v_mul_f32_e32 v2, v35, v37
	v_mul_f32_e32 v3, v34, v37
	v_fma_f32 v1, v27, v32, -v1
	v_fmac_f32_e32 v2, v34, v36
	v_fma_f32 v3, v35, v36, -v3
	ds_write2_b64 v16, v[0:1], v[2:3] offset0:210 offset1:240
	s_waitcnt vmcnt(2)
	v_mul_f32_e32 v0, v39, v41
	v_mul_f32_e32 v1, v38, v41
	s_waitcnt vmcnt(0)
	v_mul_f32_e32 v2, v45, v43
	v_mul_f32_e32 v3, v44, v43
	v_fmac_f32_e32 v0, v38, v40
	v_fma_f32 v1, v39, v40, -v1
	v_fmac_f32_e32 v2, v44, v42
	v_fma_f32 v3, v45, v42, -v3
	ds_write2_b64 v4, v[0:1], v[2:3] offset0:14 offset1:44
.LBB0_3:
	s_or_b64 exec, exec, s[8:9]
	s_load_dwordx2 s[2:3], s[4:5], 0x20
	s_load_dwordx2 s[14:15], s[4:5], 0x8
	v_mov_b32_e32 v4, 0
	v_mov_b32_e32 v5, 0
	s_waitcnt lgkmcnt(0)
	s_barrier
	s_waitcnt lgkmcnt(0)
                                        ; implicit-def: $vgpr12
                                        ; implicit-def: $vgpr8
                                        ; implicit-def: $vgpr0
                                        ; implicit-def: $vgpr18
                                        ; implicit-def: $vgpr22
	s_and_saveexec_b64 s[4:5], s[0:1]
	s_cbranch_execz .LBB0_5
; %bb.4:
	v_lshl_add_u32 v0, v63, 3, v61
	ds_read2_b64 v[4:7], v0 offset1:30
	ds_read2_b64 v[20:23], v0 offset0:60 offset1:90
	ds_read2_b64 v[16:19], v0 offset0:120 offset1:150
	;; [unrolled: 1-line block ×3, first 2 shown]
	v_add_u32_e32 v1, 0x400, v0
	ds_read2_b64 v[8:11], v1 offset0:112 offset1:142
	ds_read_b64 v[0:1], v0 offset:2400
.LBB0_5:
	s_or_b64 exec, exec, s[4:5]
	s_waitcnt lgkmcnt(0)
	v_sub_f32_e32 v40, v7, v1
	v_mul_f32_e32 v34, 0xbf0a6770, v40
	v_sub_f32_e32 v43, v21, v11
	v_add_f32_e32 v24, v0, v6
	v_sub_f32_e32 v45, v6, v0
	v_mov_b32_e32 v2, v34
	v_mul_f32_e32 v35, 0xbf68dda4, v43
	v_add_f32_e32 v26, v1, v7
	s_mov_b32 s8, 0x3f575c64
	v_mul_f32_e32 v36, 0xbf0a6770, v45
	v_fmac_f32_e32 v2, 0x3f575c64, v24
	v_add_f32_e32 v25, v10, v20
	v_sub_f32_e32 v48, v20, v10
	v_mov_b32_e32 v27, v35
	v_add_f32_e32 v2, v2, v4
	v_fma_f32 v3, v26, s8, -v36
	v_add_f32_e32 v28, v11, v21
	s_mov_b32 s9, 0x3ed4b147
	v_mul_f32_e32 v38, 0xbf68dda4, v48
	v_fmac_f32_e32 v27, 0x3ed4b147, v25
	v_sub_f32_e32 v46, v23, v9
	v_add_f32_e32 v3, v3, v5
	v_add_f32_e32 v2, v27, v2
	v_fma_f32 v27, v28, s9, -v38
	v_mul_f32_e32 v37, 0xbf7d64f0, v46
	v_add_f32_e32 v3, v27, v3
	v_add_f32_e32 v27, v8, v22
	v_sub_f32_e32 v50, v22, v8
	v_mov_b32_e32 v29, v37
	v_add_f32_e32 v30, v9, v23
	s_mov_b32 s10, 0xbe11bafb
	v_mul_f32_e32 v41, 0xbf7d64f0, v50
	v_fmac_f32_e32 v29, 0xbe11bafb, v27
	v_sub_f32_e32 v49, v17, v15
	v_add_f32_e32 v2, v29, v2
	v_fma_f32 v29, v30, s10, -v41
	v_mul_f32_e32 v39, 0xbf4178ce, v49
	v_add_f32_e32 v3, v29, v3
	v_add_f32_e32 v29, v14, v16
	v_sub_f32_e32 v53, v16, v14
	v_mov_b32_e32 v31, v39
	v_add_f32_e32 v32, v15, v17
	s_mov_b32 s11, 0xbf27a4f4
	v_mul_f32_e32 v44, 0xbf4178ce, v53
	v_fmac_f32_e32 v31, 0xbf27a4f4, v29
	v_sub_f32_e32 v51, v19, v13
	v_add_f32_e32 v2, v31, v2
	v_fma_f32 v31, v32, s11, -v44
	v_mul_f32_e32 v42, 0xbe903f40, v51
	v_add_f32_e32 v3, v31, v3
	v_add_f32_e32 v31, v12, v18
	v_sub_f32_e32 v52, v18, v12
	v_mov_b32_e32 v54, v42
	v_add_f32_e32 v33, v13, v19
	s_mov_b32 s16, 0xbf75a155
	v_mul_f32_e32 v47, 0xbe903f40, v52
	v_fmac_f32_e32 v54, 0xbf75a155, v31
	v_add_f32_e32 v2, v54, v2
	v_fma_f32 v54, v33, s16, -v47
	v_add_f32_e32 v3, v54, v3
	v_mul_lo_u16_e32 v65, 11, v62
	s_barrier
	s_and_saveexec_b64 s[4:5], s[0:1]
	s_cbranch_execz .LBB0_7
; %bb.6:
	v_add_f32_e32 v6, v6, v4
	v_add_f32_e32 v7, v7, v5
	v_add_f32_e32 v6, v20, v6
	v_add_f32_e32 v7, v21, v7
	v_add_f32_e32 v6, v22, v6
	v_add_f32_e32 v7, v23, v7
	v_add_f32_e32 v6, v16, v6
	v_add_f32_e32 v7, v17, v7
	v_add_f32_e32 v6, v18, v6
	v_add_f32_e32 v7, v19, v7
	v_add_f32_e32 v6, v12, v6
	v_add_f32_e32 v7, v13, v7
	v_add_f32_e32 v12, v14, v6
	v_add_f32_e32 v13, v15, v7
	v_add_f32_e32 v8, v8, v12
	v_mul_f32_e32 v57, 0xbf4178ce, v45
	v_add_f32_e32 v9, v9, v13
	v_add_f32_e32 v8, v10, v8
	v_mov_b32_e32 v10, v57
	v_mul_f32_e32 v59, 0x3f7d64f0, v48
	v_add_f32_e32 v9, v11, v9
	v_fmac_f32_e32 v10, 0xbf27a4f4, v26
	v_mov_b32_e32 v11, v59
	v_mul_f32_e32 v60, 0xbf0a6770, v50
	v_add_f32_e32 v10, v10, v5
	v_fmac_f32_e32 v11, 0xbe11bafb, v28
	v_add_f32_e32 v0, v0, v8
	v_mov_b32_e32 v8, v60
	v_mul_f32_e32 v66, 0xbe903f40, v53
	v_add_f32_e32 v10, v11, v10
	v_add_f32_e32 v1, v1, v9
	v_fmac_f32_e32 v8, 0x3f575c64, v30
	v_mov_b32_e32 v9, v66
	v_add_f32_e32 v8, v8, v10
	v_fmac_f32_e32 v9, 0xbf75a155, v32
	v_mul_f32_e32 v67, 0xbf4178ce, v40
	v_add_f32_e32 v8, v9, v8
	v_fma_f32 v9, v24, s11, -v67
	v_mul_f32_e32 v68, 0x3f7d64f0, v43
	v_add_f32_e32 v9, v9, v4
	v_fma_f32 v10, v25, s10, -v68
	;; [unrolled: 3-line block ×4, first 2 shown]
	v_mul_f32_e32 v71, 0x3f68dda4, v52
	v_add_f32_e32 v10, v10, v9
	v_mov_b32_e32 v9, v71
	v_fmac_f32_e32 v9, 0x3ed4b147, v33
	v_mul_f32_e32 v72, 0x3f68dda4, v51
	v_add_f32_e32 v9, v9, v8
	v_fma_f32 v8, v31, s9, -v72
	v_mul_f32_e32 v73, 0xbf7d64f0, v45
	v_add_f32_e32 v8, v8, v10
	v_mov_b32_e32 v10, v73
	v_mul_f32_e32 v74, 0x3e903f40, v48
	v_fmac_f32_e32 v10, 0xbe11bafb, v26
	v_mov_b32_e32 v11, v74
	v_add_f32_e32 v10, v10, v5
	v_fmac_f32_e32 v11, 0xbf75a155, v28
	v_mul_f32_e32 v75, 0x3f68dda4, v50
	v_add_f32_e32 v10, v11, v10
	v_mov_b32_e32 v11, v75
	v_fmac_f32_e32 v11, 0x3ed4b147, v30
	v_mul_f32_e32 v76, 0xbf0a6770, v53
	v_add_f32_e32 v10, v11, v10
	v_mov_b32_e32 v11, v76
	v_fmac_f32_e32 v11, 0x3f575c64, v32
	v_mul_f32_e32 v77, 0xbf7d64f0, v40
	v_add_f32_e32 v10, v11, v10
	v_fma_f32 v11, v24, s10, -v77
	v_mul_f32_e32 v78, 0x3e903f40, v43
	v_mul_f32_e32 v20, 0xbe903f40, v45
	v_add_f32_e32 v11, v11, v4
	v_fma_f32 v12, v25, s16, -v78
	v_mul_f32_e32 v79, 0x3f68dda4, v46
	v_mov_b32_e32 v21, v20
	v_mul_f32_e32 v22, 0x3f0a6770, v48
	v_add_f32_e32 v11, v12, v11
	v_fma_f32 v12, v27, s9, -v79
	v_mul_f32_e32 v80, 0xbf0a6770, v49
	v_fmac_f32_e32 v21, 0xbf75a155, v26
	v_mov_b32_e32 v23, v22
	v_add_f32_e32 v11, v12, v11
	v_fma_f32 v12, v29, s8, -v80
	v_mul_f32_e32 v81, 0xbf4178ce, v52
	v_add_f32_e32 v21, v21, v5
	v_fmac_f32_e32 v23, 0x3f575c64, v28
	v_add_f32_e32 v12, v12, v11
	v_mov_b32_e32 v11, v81
	v_add_f32_e32 v21, v23, v21
	v_mul_f32_e32 v23, 0xbf4178ce, v50
	v_fmac_f32_e32 v11, 0xbf27a4f4, v33
	v_mul_f32_e32 v82, 0xbf4178ce, v51
	v_mov_b32_e32 v54, v23
	v_mul_f32_e32 v16, 0x3f68dda4, v53
	v_add_f32_e32 v11, v11, v10
	v_fma_f32 v10, v31, s11, -v82
	v_mul_f32_e32 v45, 0xbf68dda4, v45
	v_fmac_f32_e32 v54, 0xbf27a4f4, v30
	v_mov_b32_e32 v17, v16
	v_add_f32_e32 v10, v10, v12
	v_mov_b32_e32 v12, v45
	v_mul_f32_e32 v48, 0xbf4178ce, v48
	v_add_f32_e32 v21, v54, v21
	v_fmac_f32_e32 v17, 0x3ed4b147, v32
	v_mul_f32_e32 v19, 0xbe903f40, v40
	v_fmac_f32_e32 v12, 0x3ed4b147, v26
	v_mov_b32_e32 v13, v48
	v_add_f32_e32 v17, v17, v21
	v_fma_f32 v21, v24, s16, -v19
	v_mul_f32_e32 v54, 0x3f0a6770, v43
	v_add_f32_e32 v12, v12, v5
	v_fmac_f32_e32 v13, 0xbf27a4f4, v28
	v_mul_f32_e32 v50, 0x3e903f40, v50
	v_add_f32_e32 v21, v21, v4
	v_fma_f32 v6, v25, s8, -v54
	v_add_f32_e32 v12, v13, v12
	v_mov_b32_e32 v13, v50
	v_add_f32_e32 v6, v6, v21
	v_mul_f32_e32 v21, 0xbf4178ce, v46
	v_fmac_f32_e32 v13, 0xbf75a155, v30
	v_mul_f32_e32 v53, 0x3f7d64f0, v53
	v_fma_f32 v7, v27, s11, -v21
	v_mul_f32_e32 v55, 0x3f68dda4, v49
	v_add_f32_e32 v12, v13, v12
	v_mov_b32_e32 v13, v53
	v_add_f32_e32 v6, v7, v6
	v_fma_f32 v7, v29, s9, -v55
	v_mul_f32_e32 v56, 0xbf7d64f0, v51
	v_fmac_f32_e32 v13, 0xbe11bafb, v32
	v_mul_f32_e32 v40, 0xbf68dda4, v40
	v_add_f32_e32 v6, v7, v6
	v_fma_f32 v14, v31, s10, -v56
	v_add_f32_e32 v12, v13, v12
	v_fma_f32 v13, v24, s9, -v40
	v_mul_f32_e32 v43, 0xbf4178ce, v43
	v_add_f32_e32 v6, v14, v6
	v_add_f32_e32 v13, v13, v4
	v_fma_f32 v14, v25, s11, -v43
	v_mul_f32_e32 v46, 0x3e903f40, v46
	v_add_f32_e32 v13, v14, v13
	v_fma_f32 v14, v27, s16, -v46
	v_mul_f32_e32 v49, 0x3f7d64f0, v49
	v_mul_f32_e32 v18, 0xbf7d64f0, v52
	v_add_f32_e32 v13, v14, v13
	v_fma_f32 v14, v29, s10, -v49
	v_mul_f32_e32 v52, 0x3f0a6770, v52
	v_add_f32_e32 v14, v14, v13
	v_mov_b32_e32 v13, v52
	v_mov_b32_e32 v7, v18
	v_fmac_f32_e32 v13, 0x3f575c64, v33
	v_mul_f32_e32 v51, 0x3f0a6770, v51
	v_fmac_f32_e32 v7, 0xbe11bafb, v33
	v_add_f32_e32 v13, v13, v12
	v_fma_f32 v12, v31, s8, -v51
	v_add_f32_e32 v7, v7, v17
	v_add_f32_e32 v12, v12, v14
	v_mul_f32_e32 v14, 0x3f575c64, v26
	v_mul_f32_e32 v17, 0x3f575c64, v24
	v_add_f32_e32 v14, v36, v14
	v_mul_f32_e32 v15, 0x3ed4b147, v28
	v_sub_f32_e32 v17, v17, v34
	v_mul_f32_e32 v34, 0x3ed4b147, v25
	v_add_f32_e32 v15, v38, v15
	v_add_f32_e32 v14, v14, v5
	v_sub_f32_e32 v34, v34, v35
	v_add_f32_e32 v17, v17, v4
	v_add_f32_e32 v14, v15, v14
	v_mul_f32_e32 v15, 0xbe11bafb, v30
	v_add_f32_e32 v17, v34, v17
	v_mul_f32_e32 v34, 0xbe11bafb, v27
	v_add_f32_e32 v15, v41, v15
	v_sub_f32_e32 v34, v34, v37
	v_add_f32_e32 v14, v15, v14
	v_mul_f32_e32 v15, 0xbf27a4f4, v32
	v_add_f32_e32 v17, v34, v17
	v_mul_f32_e32 v34, 0xbf27a4f4, v29
	v_add_f32_e32 v15, v44, v15
	v_sub_f32_e32 v34, v34, v39
	;; [unrolled: 6-line block ×3, first 2 shown]
	v_add_f32_e32 v15, v15, v14
	v_add_f32_e32 v14, v34, v17
	v_fma_f32 v17, v26, s16, -v20
	v_add_f32_e32 v17, v17, v5
	v_fma_f32 v20, v28, s8, -v22
	;; [unrolled: 2-line block ×4, first 2 shown]
	v_fmac_f32_e32 v19, 0xbf75a155, v24
	v_add_f32_e32 v16, v16, v17
	v_add_f32_e32 v17, v19, v4
	v_fmac_f32_e32 v54, 0x3f575c64, v25
	v_add_f32_e32 v17, v54, v17
	v_fmac_f32_e32 v21, 0xbf27a4f4, v27
	;; [unrolled: 2-line block ×3, first 2 shown]
	v_add_f32_e32 v19, v55, v17
	v_fma_f32 v17, v33, s10, -v18
	v_fmac_f32_e32 v56, 0xbe11bafb, v31
	v_fma_f32 v18, v26, s11, -v57
	v_add_f32_e32 v17, v17, v16
	v_add_f32_e32 v16, v56, v19
	;; [unrolled: 1-line block ×3, first 2 shown]
	v_fma_f32 v19, v28, s10, -v59
	v_add_f32_e32 v18, v19, v18
	v_fma_f32 v19, v30, s8, -v60
	v_add_f32_e32 v18, v19, v18
	v_fma_f32 v19, v32, s16, -v66
	v_fmac_f32_e32 v67, 0xbf27a4f4, v24
	v_add_f32_e32 v18, v19, v18
	v_add_f32_e32 v19, v67, v4
	v_fmac_f32_e32 v68, 0xbe11bafb, v25
	v_add_f32_e32 v20, v68, v19
	v_fma_f32 v19, v33, s9, -v71
	v_fmac_f32_e32 v69, 0x3f575c64, v27
	v_add_f32_e32 v19, v19, v18
	v_add_f32_e32 v18, v69, v20
	v_fma_f32 v20, v26, s10, -v73
	v_add_f32_e32 v20, v20, v5
	v_fma_f32 v21, v28, s16, -v74
	;; [unrolled: 2-line block ×4, first 2 shown]
	v_fma_f32 v22, v26, s9, -v45
	v_add_f32_e32 v20, v21, v20
	v_fma_f32 v21, v33, s11, -v81
	v_fmac_f32_e32 v77, 0xbe11bafb, v24
	v_add_f32_e32 v5, v22, v5
	v_fma_f32 v22, v28, s11, -v48
	v_fmac_f32_e32 v40, 0x3ed4b147, v24
	v_add_f32_e32 v21, v21, v20
	v_add_f32_e32 v20, v77, v4
	v_fmac_f32_e32 v78, 0xbf75a155, v25
	v_add_f32_e32 v5, v22, v5
	v_fma_f32 v22, v30, s16, -v50
	v_add_f32_e32 v4, v40, v4
	v_fmac_f32_e32 v43, 0xbf27a4f4, v25
	v_add_f32_e32 v20, v78, v20
	v_fmac_f32_e32 v79, 0x3ed4b147, v27
	v_add_f32_e32 v5, v22, v5
	v_fma_f32 v22, v32, s10, -v53
	v_add_f32_e32 v4, v43, v4
	v_fmac_f32_e32 v46, 0xbf75a155, v27
	v_fmac_f32_e32 v70, 0xbf75a155, v29
	v_add_f32_e32 v20, v79, v20
	v_fmac_f32_e32 v80, 0x3f575c64, v29
	v_add_f32_e32 v5, v22, v5
	v_fma_f32 v22, v33, s8, -v52
	v_add_f32_e32 v4, v46, v4
	v_fmac_f32_e32 v49, 0xbe11bafb, v29
	v_add_f32_e32 v18, v70, v18
	v_fmac_f32_e32 v72, 0x3ed4b147, v31
	;; [unrolled: 2-line block ×3, first 2 shown]
	v_add_f32_e32 v5, v22, v5
	v_add_f32_e32 v4, v49, v4
	v_fmac_f32_e32 v51, 0x3f575c64, v31
	v_add_lshl_u32 v22, v63, v65, 3
	v_add_f32_e32 v18, v72, v18
	v_add_f32_e32 v20, v82, v20
	;; [unrolled: 1-line block ×3, first 2 shown]
	ds_write2_b64 v22, v[0:1], v[14:15] offset1:1
	ds_write2_b64 v22, v[12:13], v[10:11] offset0:2 offset1:3
	ds_write2_b64 v22, v[8:9], v[6:7] offset0:4 offset1:5
	;; [unrolled: 1-line block ×4, first 2 shown]
	ds_write_b64 v22, v[2:3] offset:80
.LBB0_7:
	s_or_b64 exec, exec, s[4:5]
	s_load_dwordx4 s[8:11], s[2:3], 0x0
	s_movk_i32 s2, 0x75
	v_mul_lo_u16_sdwa v0, v62, s2 dst_sel:DWORD dst_unused:UNUSED_PAD src0_sel:BYTE_0 src1_sel:DWORD
	v_sub_u16_sdwa v1, v62, v0 dst_sel:DWORD dst_unused:UNUSED_PAD src0_sel:DWORD src1_sel:BYTE_1
	v_lshrrev_b16_e32 v1, 1, v1
	v_and_b32_e32 v1, 0x7f, v1
	v_add_u16_sdwa v0, v1, v0 dst_sel:DWORD dst_unused:UNUSED_PAD src0_sel:DWORD src1_sel:BYTE_1
	v_lshrrev_b16_e32 v40, 3, v0
	v_mul_lo_u16_e32 v0, 11, v40
	v_sub_u16_e32 v0, v62, v0
	v_and_b32_e32 v41, 0xff, v0
	v_mov_b32_e32 v0, s14
	s_movk_i32 s2, 0x48
	v_mov_b32_e32 v1, s15
	v_mad_u64_u32 v[0:1], s[2:3], v41, s2, v[0:1]
	s_waitcnt lgkmcnt(0)
	s_barrier
	global_load_dwordx4 v[16:19], v[0:1], off
	global_load_dwordx4 v[12:15], v[0:1], off offset:16
	global_load_dwordx4 v[8:11], v[0:1], off offset:32
	;; [unrolled: 1-line block ×3, first 2 shown]
	global_load_dwordx2 v[59:60], v[0:1], off offset:64
	v_add_lshl_u32 v66, v63, v62, 3
	v_add_u32_e32 v0, 0x800, v66
	ds_read2_b64 v[20:23], v66 offset1:33
	ds_read2_b64 v[24:27], v66 offset0:66 offset1:99
	ds_read2_b64 v[28:31], v66 offset0:132 offset1:165
	;; [unrolled: 1-line block ×4, first 2 shown]
	s_mov_b32 s4, 0x3f737871
	s_mov_b32 s2, 0xbf737871
	;; [unrolled: 1-line block ×4, first 2 shown]
	s_waitcnt vmcnt(0) lgkmcnt(0)
	s_barrier
	v_mul_f32_e32 v0, v23, v17
	v_mul_f32_e32 v1, v22, v17
	;; [unrolled: 1-line block ×12, first 2 shown]
	v_fma_f32 v0, v22, v16, -v0
	v_fmac_f32_e32 v1, v23, v16
	v_fma_f32 v22, v24, v18, -v42
	v_fma_f32 v23, v26, v12, -v44
	;; [unrolled: 1-line block ×5, first 2 shown]
	v_mul_f32_e32 v49, v30, v9
	v_mul_f32_e32 v51, v32, v11
	;; [unrolled: 1-line block ×4, first 2 shown]
	v_fmac_f32_e32 v45, v27, v12
	v_fma_f32 v27, v34, v4, -v52
	v_fmac_f32_e32 v53, v35, v4
	v_sub_f32_e32 v34, v22, v24
	v_sub_f32_e32 v35, v28, v26
	v_add_f32_e32 v36, v22, v28
	v_mul_f32_e32 v48, v31, v9
	v_mul_f32_e32 v57, v38, v60
	v_fmac_f32_e32 v47, v29, v14
	v_fmac_f32_e32 v49, v31, v8
	;; [unrolled: 1-line block ×4, first 2 shown]
	v_fma_f32 v29, v38, v59, -v56
	v_add_f32_e32 v31, v24, v26
	v_sub_f32_e32 v37, v24, v22
	v_sub_f32_e32 v38, v26, v28
	v_add_f32_e32 v34, v34, v35
	v_fma_f32 v35, -0.5, v36, v20
	v_fmac_f32_e32 v43, v25, v18
	v_fma_f32 v25, v30, v8, -v48
	v_add_f32_e32 v30, v20, v22
	v_sub_f32_e32 v33, v47, v51
	v_fma_f32 v31, -0.5, v31, v20
	v_add_f32_e32 v20, v37, v38
	v_mov_b32_e32 v38, v35
	v_fmac_f32_e32 v57, v39, v59
	v_sub_f32_e32 v32, v43, v55
	v_add_f32_e32 v39, v21, v43
	v_fmac_f32_e32 v35, 0x3f737871, v33
	v_fmac_f32_e32 v38, 0xbf737871, v33
	v_add_f32_e32 v36, v39, v47
	v_mov_b32_e32 v37, v31
	v_fmac_f32_e32 v35, 0xbf167918, v32
	v_fmac_f32_e32 v38, 0x3f167918, v32
	;; [unrolled: 1-line block ×6, first 2 shown]
	v_add_f32_e32 v20, v36, v51
	v_fmac_f32_e32 v31, 0xbf167918, v33
	v_fmac_f32_e32 v37, 0x3f167918, v33
	v_add_f32_e32 v33, v20, v55
	v_add_f32_e32 v20, v47, v51
	v_fma_f32 v39, -0.5, v20, v21
	v_add_f32_e32 v30, v30, v24
	v_sub_f32_e32 v20, v22, v28
	v_mov_b32_e32 v42, v39
	v_add_f32_e32 v30, v30, v26
	v_fmac_f32_e32 v42, 0xbf737871, v20
	v_sub_f32_e32 v22, v24, v26
	v_sub_f32_e32 v24, v43, v47
	;; [unrolled: 1-line block ×3, first 2 shown]
	v_fmac_f32_e32 v39, 0x3f737871, v20
	v_fmac_f32_e32 v42, 0xbf167918, v22
	v_add_f32_e32 v24, v24, v26
	v_fmac_f32_e32 v39, 0x3f167918, v22
	v_fmac_f32_e32 v42, 0x3e9e377a, v24
	;; [unrolled: 1-line block ×3, first 2 shown]
	v_add_f32_e32 v24, v43, v55
	v_fma_f32 v44, -0.5, v24, v21
	v_mov_b32_e32 v46, v44
	v_fmac_f32_e32 v46, 0x3f737871, v22
	v_fmac_f32_e32 v44, 0xbf737871, v22
	;; [unrolled: 1-line block ×4, first 2 shown]
	v_add_f32_e32 v20, v0, v23
	v_add_f32_e32 v20, v20, v25
	v_add_f32_e32 v20, v20, v27
	v_add_f32_e32 v32, v20, v29
	v_add_f32_e32 v20, v25, v27
	v_fmac_f32_e32 v31, 0x3e9e377a, v34
	v_fmac_f32_e32 v37, 0x3e9e377a, v34
	v_sub_f32_e32 v21, v47, v43
	v_sub_f32_e32 v24, v51, v55
	v_fma_f32 v34, -0.5, v20, v0
	v_add_f32_e32 v21, v21, v24
	v_sub_f32_e32 v20, v45, v57
	v_mov_b32_e32 v36, v34
	v_fmac_f32_e32 v46, 0x3e9e377a, v21
	v_fmac_f32_e32 v44, 0x3e9e377a, v21
	;; [unrolled: 1-line block ×3, first 2 shown]
	v_sub_f32_e32 v21, v49, v53
	v_sub_f32_e32 v22, v23, v25
	;; [unrolled: 1-line block ×3, first 2 shown]
	v_fmac_f32_e32 v34, 0xbf737871, v20
	v_fmac_f32_e32 v36, 0x3f167918, v21
	v_add_f32_e32 v22, v22, v24
	v_fmac_f32_e32 v34, 0xbf167918, v21
	v_fmac_f32_e32 v36, 0x3e9e377a, v22
	;; [unrolled: 1-line block ×3, first 2 shown]
	v_add_f32_e32 v22, v23, v29
	v_fmac_f32_e32 v0, -0.5, v22
	v_mov_b32_e32 v43, v0
	v_fmac_f32_e32 v43, 0xbf737871, v21
	v_fmac_f32_e32 v0, 0x3f737871, v21
	;; [unrolled: 1-line block ×4, first 2 shown]
	v_add_f32_e32 v20, v1, v45
	v_add_f32_e32 v20, v20, v49
	v_add_f32_e32 v20, v20, v53
	v_add_f32_e32 v47, v20, v57
	v_add_f32_e32 v20, v49, v53
	v_sub_f32_e32 v22, v25, v23
	v_sub_f32_e32 v24, v27, v29
	v_fma_f32 v48, -0.5, v20, v1
	v_add_f32_e32 v22, v22, v24
	v_sub_f32_e32 v20, v23, v29
	v_mov_b32_e32 v23, v48
	v_fmac_f32_e32 v43, 0x3e9e377a, v22
	v_fmac_f32_e32 v0, 0x3e9e377a, v22
	;; [unrolled: 1-line block ×3, first 2 shown]
	v_sub_f32_e32 v21, v25, v27
	v_sub_f32_e32 v22, v45, v49
	;; [unrolled: 1-line block ×3, first 2 shown]
	v_fmac_f32_e32 v48, 0x3f737871, v20
	v_fmac_f32_e32 v23, 0xbf167918, v21
	v_add_f32_e32 v22, v22, v24
	v_fmac_f32_e32 v48, 0x3f167918, v21
	v_fmac_f32_e32 v23, 0x3e9e377a, v22
	;; [unrolled: 1-line block ×3, first 2 shown]
	v_add_f32_e32 v22, v45, v57
	v_fmac_f32_e32 v1, -0.5, v22
	v_mov_b32_e32 v25, v1
	v_fmac_f32_e32 v25, 0x3f737871, v21
	v_sub_f32_e32 v22, v49, v45
	v_sub_f32_e32 v24, v53, v57
	v_fmac_f32_e32 v1, 0xbf737871, v21
	v_fmac_f32_e32 v25, 0xbf167918, v20
	v_add_f32_e32 v22, v22, v24
	v_fmac_f32_e32 v1, 0x3f167918, v20
	v_fmac_f32_e32 v25, 0x3e9e377a, v22
	;; [unrolled: 1-line block ×3, first 2 shown]
	v_mul_f32_e32 v21, 0x3e9e377a, v0
	v_mul_f32_e32 v49, 0x3f737871, v25
	v_fma_f32 v50, v1, s4, -v21
	v_mul_f32_e32 v1, 0x3e9e377a, v1
	v_fmac_f32_e32 v49, 0x3e9e377a, v43
	v_mul_f32_e32 v21, 0x3f4f1bbd, v34
	v_fma_f32 v1, v0, s2, -v1
	v_mul_f32_e32 v0, 0x3f4f1bbd, v48
	v_mul_f32_e32 v45, 0x3f167918, v23
	v_add_f32_e32 v24, v38, v49
	v_fma_f32 v51, v48, s5, -v21
	v_mul_f32_e32 v52, 0xbf167918, v36
	v_fma_f32 v48, v34, s3, -v0
	v_sub_f32_e32 v34, v38, v49
	v_mul_u32_u24_e32 v38, 0x6e, v40
	v_add_f32_e32 v30, v30, v28
	v_fmac_f32_e32 v45, 0x3f4f1bbd, v36
	v_fmac_f32_e32 v52, 0x3f4f1bbd, v23
	v_mul_f32_e32 v43, 0xbf737871, v43
	v_add_u32_e32 v38, v38, v41
	v_add_f32_e32 v20, v30, v32
	v_add_f32_e32 v22, v37, v45
	;; [unrolled: 1-line block ×4, first 2 shown]
	v_fmac_f32_e32 v43, 0x3e9e377a, v25
	v_sub_f32_e32 v30, v30, v32
	v_sub_f32_e32 v32, v37, v45
	;; [unrolled: 1-line block ×4, first 2 shown]
	v_add_lshl_u32 v68, v63, v38, 3
	v_add_f32_e32 v26, v35, v50
	v_add_f32_e32 v28, v31, v51
	;; [unrolled: 1-line block ×5, first 2 shown]
	v_sub_f32_e32 v0, v31, v51
	v_sub_f32_e32 v31, v33, v47
	;; [unrolled: 1-line block ×5, first 2 shown]
	ds_write2_b64 v68, v[20:21], v[22:23] offset1:11
	ds_write2_b64 v68, v[24:25], v[26:27] offset0:22 offset1:33
	ds_write2_b64 v68, v[28:29], v[30:31] offset0:44 offset1:55
	;; [unrolled: 1-line block ×4, first 2 shown]
	s_waitcnt lgkmcnt(0)
	s_barrier
	ds_read2_b64 v[36:39], v66 offset1:33
	ds_read2_b64 v[40:43], v66 offset0:66 offset1:110
	ds_read2_b64 v[44:47], v66 offset0:220 offset1:253
	;; [unrolled: 1-line block ×3, first 2 shown]
	ds_read_b64 v[52:53], v66 offset:2288
	v_cmp_gt_u16_e64 s[2:3], 11, v62
                                        ; implicit-def: $vgpr54
	s_and_saveexec_b64 s[4:5], s[2:3]
	s_cbranch_execz .LBB0_9
; %bb.8:
	ds_read2_b64 v[0:3], v66 offset0:99 offset1:209
	ds_read_b64 v[54:55], v66 offset:2552
.LBB0_9:
	s_or_b64 exec, exec, s[4:5]
	v_lshlrev_b32_e32 v20, 4, v62
	v_add_u32_e32 v21, 0x210, v20
	global_load_dwordx4 v[24:27], v20, s[14:15] offset:792
	global_load_dwordx4 v[28:31], v21, s[14:15] offset:792
	v_add_u32_e32 v20, 0x420, v20
	global_load_dwordx4 v[32:35], v20, s[14:15] offset:792
	v_add_co_u32_e32 v20, vcc, 0x63, v62
	v_add_co_u32_e64 v21, s[4:5], -11, v62
	v_addc_co_u32_e64 v22, s[4:5], 0, -1, s[4:5]
	v_addc_co_u32_e64 v56, s[4:5], 0, 0, vcc
	v_cndmask_b32_e64 v20, v21, v20, s[2:3]
	v_cndmask_b32_e64 v21, v22, v56, s[2:3]
	v_lshlrev_b64 v[20:21], 4, v[20:21]
	v_mov_b32_e32 v23, s15
	v_add_co_u32_e32 v20, vcc, s14, v20
	v_addc_co_u32_e32 v21, vcc, v23, v21, vcc
	global_load_dwordx4 v[20:23], v[20:21], off offset:792
	s_waitcnt vmcnt(3) lgkmcnt(3)
	v_mul_f32_e32 v56, v43, v25
	v_mul_f32_e32 v57, v42, v25
	s_waitcnt lgkmcnt(2)
	v_mul_f32_e32 v67, v45, v27
	v_mul_f32_e32 v69, v44, v27
	v_fma_f32 v42, v42, v24, -v56
	v_fmac_f32_e32 v57, v43, v24
	v_fma_f32 v43, v44, v26, -v67
	v_fmac_f32_e32 v69, v45, v26
	s_waitcnt vmcnt(2) lgkmcnt(1)
	v_mul_f32_e32 v44, v49, v29
	v_mul_f32_e32 v56, v48, v29
	;; [unrolled: 1-line block ×4, first 2 shown]
	s_waitcnt vmcnt(1)
	v_mul_f32_e32 v70, v51, v33
	v_fma_f32 v48, v48, v28, -v44
	v_fmac_f32_e32 v56, v49, v28
	v_fma_f32 v49, v46, v30, -v45
	v_add_f32_e32 v45, v42, v43
	v_mul_f32_e32 v71, v50, v33
	s_waitcnt lgkmcnt(0)
	v_mul_f32_e32 v72, v53, v35
	v_mul_f32_e32 v73, v52, v35
	v_fmac_f32_e32 v67, v47, v30
	v_fma_f32 v70, v50, v32, -v70
	v_add_f32_e32 v44, v36, v42
	v_add_f32_e32 v47, v57, v69
	v_fma_f32 v50, -0.5, v45, v36
	v_add_f32_e32 v36, v38, v48
	v_fmac_f32_e32 v71, v51, v32
	v_fma_f32 v72, v52, v34, -v72
	v_fmac_f32_e32 v73, v53, v34
	v_add_f32_e32 v46, v37, v57
	v_sub_f32_e32 v42, v42, v43
	v_add_f32_e32 v44, v44, v43
	v_fma_f32 v51, -0.5, v47, v37
	v_add_f32_e32 v37, v48, v49
	v_sub_f32_e32 v43, v56, v67
	v_add_f32_e32 v53, v39, v56
	v_add_f32_e32 v56, v56, v67
	v_sub_f32_e32 v48, v48, v49
	v_add_f32_e32 v52, v36, v49
	s_waitcnt vmcnt(0)
	v_mul_f32_e32 v49, v3, v21
	v_add_f32_e32 v53, v53, v67
	v_fmac_f32_e32 v39, -0.5, v56
	v_mul_f32_e32 v67, v2, v21
	v_mul_f32_e32 v56, v55, v23
	v_fma_f32 v49, v2, v20, -v49
	v_add_f32_e32 v2, v40, v70
	v_sub_f32_e32 v74, v57, v69
	v_add_f32_e32 v45, v46, v69
	v_mul_f32_e32 v69, v54, v23
	v_fmac_f32_e32 v67, v3, v20
	v_fma_f32 v3, v54, v22, -v56
	v_add_f32_e32 v54, v2, v72
	v_add_f32_e32 v2, v70, v72
	v_fma_f32 v40, -0.5, v2, v40
	v_sub_f32_e32 v2, v71, v73
	v_mov_b32_e32 v56, v40
	v_fmac_f32_e32 v56, 0x3f5db3d7, v2
	v_fmac_f32_e32 v40, 0xbf5db3d7, v2
	v_add_f32_e32 v2, v41, v71
	v_fmac_f32_e32 v69, v55, v22
	v_add_f32_e32 v55, v2, v73
	v_add_f32_e32 v2, v71, v73
	v_fmac_f32_e32 v41, -0.5, v2
	v_sub_f32_e32 v2, v70, v72
	v_mov_b32_e32 v57, v41
	v_mov_b32_e32 v47, v51
	v_fmac_f32_e32 v57, 0xbf5db3d7, v2
	v_fmac_f32_e32 v41, 0x3f5db3d7, v2
	v_add_f32_e32 v2, v0, v49
	v_fmac_f32_e32 v51, 0x3f5db3d7, v42
	v_fma_f32 v38, -0.5, v37, v38
	v_fmac_f32_e32 v47, 0xbf5db3d7, v42
	v_add_f32_e32 v42, v2, v3
	v_add_f32_e32 v2, v49, v3
	v_mov_b32_e32 v36, v38
	v_mov_b32_e32 v37, v39
	v_fmac_f32_e32 v0, -0.5, v2
	v_fmac_f32_e32 v38, 0xbf5db3d7, v43
	v_fmac_f32_e32 v39, 0x3f5db3d7, v48
	v_fmac_f32_e32 v36, 0x3f5db3d7, v43
	v_fmac_f32_e32 v37, 0xbf5db3d7, v48
	v_sub_f32_e32 v43, v67, v69
	v_mov_b32_e32 v2, v0
	v_add_f32_e32 v48, v67, v69
	v_fmac_f32_e32 v2, 0x3f5db3d7, v43
	v_fmac_f32_e32 v0, 0xbf5db3d7, v43
	v_add_f32_e32 v43, v1, v67
	v_fmac_f32_e32 v1, -0.5, v48
	v_mov_b32_e32 v46, v50
	v_sub_f32_e32 v48, v49, v3
	v_mov_b32_e32 v3, v1
	v_fmac_f32_e32 v50, 0xbf5db3d7, v74
	v_fmac_f32_e32 v46, 0x3f5db3d7, v74
	v_add_f32_e32 v43, v43, v69
	v_fmac_f32_e32 v3, 0xbf5db3d7, v48
	v_fmac_f32_e32 v1, 0x3f5db3d7, v48
	v_lshl_add_u32 v67, v62, 3, v64
	v_add_u32_e32 v69, v61, v64
	ds_write2_b64 v67, v[46:47], v[50:51] offset0:110 offset1:220
	ds_write2_b64 v67, v[44:45], v[52:53] offset1:33
	ds_write_b64 v69, v[36:37] offset:1144
	ds_write_b64 v69, v[38:39] offset:2024
	;; [unrolled: 1-line block ×5, first 2 shown]
	s_and_saveexec_b64 s[4:5], s[2:3]
	s_cbranch_execz .LBB0_11
; %bb.10:
	ds_write2_b64 v67, v[42:43], v[2:3] offset0:99 offset1:209
	ds_write_b64 v67, v[0:1] offset:2552
.LBB0_11:
	s_or_b64 exec, exec, s[4:5]
	s_waitcnt lgkmcnt(0)
	s_barrier
	s_and_saveexec_b64 s[4:5], s[0:1]
	s_cbranch_execz .LBB0_13
; %bb.12:
	global_load_dwordx2 v[48:49], v61, s[6:7] offset:2640
	ds_read2_b64 v[70:73], v67 offset1:30
	s_add_u32 s14, s6, 0xa50
	s_addc_u32 s15, s7, 0
	v_add_u32_e32 v76, 0x400, v67
	s_waitcnt vmcnt(0) lgkmcnt(0)
	v_mul_f32_e32 v74, v71, v49
	v_mul_f32_e32 v75, v70, v49
	v_fma_f32 v74, v70, v48, -v74
	v_fmac_f32_e32 v75, v71, v48
	global_load_dwordx2 v[48:49], v61, s[14:15] offset:240
	s_waitcnt vmcnt(0)
	v_mul_f32_e32 v70, v73, v49
	v_mul_f32_e32 v71, v72, v49
	v_fma_f32 v70, v72, v48, -v70
	v_fmac_f32_e32 v71, v73, v48
	global_load_dwordx2 v[48:49], v61, s[14:15] offset:480
	ds_write2_b64 v67, v[74:75], v[70:71] offset1:30
	ds_read2_b64 v[70:73], v67 offset0:60 offset1:90
	s_waitcnt vmcnt(0) lgkmcnt(0)
	v_mul_f32_e32 v74, v71, v49
	v_mul_f32_e32 v75, v70, v49
	v_fma_f32 v74, v70, v48, -v74
	v_fmac_f32_e32 v75, v71, v48
	global_load_dwordx2 v[48:49], v61, s[14:15] offset:720
	s_waitcnt vmcnt(0)
	v_mul_f32_e32 v70, v73, v49
	v_mul_f32_e32 v71, v72, v49
	v_fma_f32 v70, v72, v48, -v70
	v_fmac_f32_e32 v71, v73, v48
	global_load_dwordx2 v[48:49], v61, s[14:15] offset:960
	ds_write2_b64 v67, v[74:75], v[70:71] offset0:60 offset1:90
	ds_read2_b64 v[70:73], v67 offset0:120 offset1:150
	s_waitcnt vmcnt(0) lgkmcnt(0)
	v_mul_f32_e32 v74, v71, v49
	v_mul_f32_e32 v75, v70, v49
	v_fma_f32 v74, v70, v48, -v74
	v_fmac_f32_e32 v75, v71, v48
	global_load_dwordx2 v[48:49], v61, s[14:15] offset:1200
	s_waitcnt vmcnt(0)
	v_mul_f32_e32 v70, v73, v49
	v_mul_f32_e32 v71, v72, v49
	v_fma_f32 v70, v72, v48, -v70
	v_fmac_f32_e32 v71, v73, v48
	global_load_dwordx2 v[48:49], v61, s[14:15] offset:1440
	ds_write2_b64 v67, v[74:75], v[70:71] offset0:120 offset1:150
	;; [unrolled: 14-line block ×3, first 2 shown]
	ds_read2_b64 v[70:73], v76 offset0:112 offset1:142
	s_waitcnt vmcnt(0) lgkmcnt(0)
	v_mul_f32_e32 v74, v71, v49
	v_mul_f32_e32 v75, v70, v49
	v_fma_f32 v74, v70, v48, -v74
	v_fmac_f32_e32 v75, v71, v48
	global_load_dwordx2 v[48:49], v61, s[14:15] offset:2160
	s_waitcnt vmcnt(0)
	v_mul_f32_e32 v70, v73, v49
	v_mul_f32_e32 v71, v72, v49
	v_fma_f32 v70, v72, v48, -v70
	v_fmac_f32_e32 v71, v73, v48
	ds_write2_b64 v76, v[74:75], v[70:71] offset0:112 offset1:142
	global_load_dwordx2 v[70:71], v61, s[14:15] offset:2400
	ds_read_b64 v[48:49], v67 offset:2400
	s_waitcnt vmcnt(0) lgkmcnt(0)
	v_mul_f32_e32 v72, v49, v71
	v_mul_f32_e32 v73, v48, v71
	v_fma_f32 v72, v48, v70, -v72
	v_fmac_f32_e32 v73, v49, v70
	ds_write_b64 v67, v[72:73] offset:2400
.LBB0_13:
	s_or_b64 exec, exec, s[4:5]
	s_waitcnt lgkmcnt(0)
	s_barrier
	s_and_saveexec_b64 s[4:5], s[0:1]
	s_cbranch_execz .LBB0_15
; %bb.14:
	ds_read2_b64 v[44:47], v67 offset1:30
	ds_read2_b64 v[50:53], v67 offset0:60 offset1:90
	ds_read2_b64 v[36:39], v67 offset0:120 offset1:150
	;; [unrolled: 1-line block ×3, first 2 shown]
	v_add_u32_e32 v2, 0x400, v67
	ds_read2_b64 v[40:43], v2 offset0:112 offset1:142
	ds_read_b64 v[2:3], v67 offset:2400
.LBB0_15:
	s_or_b64 exec, exec, s[4:5]
	s_waitcnt lgkmcnt(0)
	v_sub_f32_e32 v85, v47, v3
	v_add_f32_e32 v70, v2, v46
	v_add_f32_e32 v92, v3, v47
	s_mov_b32 s14, 0x3f575c64
	v_mul_f32_e32 v80, 0xbf0a6770, v85
	v_sub_f32_e32 v88, v51, v43
	v_mul_f32_e32 v82, 0x3f575c64, v92
	v_fma_f32 v48, v70, s14, -v80
	v_add_f32_e32 v71, v42, v50
	v_add_f32_e32 v95, v43, v51
	s_mov_b32 s15, 0x3ed4b147
	v_mul_f32_e32 v81, 0xbf68dda4, v88
	v_sub_f32_e32 v72, v46, v2
	v_add_f32_e32 v48, v44, v48
	v_mov_b32_e32 v49, v82
	v_mul_f32_e32 v84, 0x3ed4b147, v95
	v_fma_f32 v73, v71, s15, -v81
	v_fmac_f32_e32 v49, 0xbf0a6770, v72
	v_sub_f32_e32 v74, v50, v42
	v_add_f32_e32 v48, v73, v48
	v_mov_b32_e32 v73, v84
	v_add_f32_e32 v49, v45, v49
	v_fmac_f32_e32 v73, 0xbf68dda4, v74
	v_sub_f32_e32 v91, v53, v41
	v_add_f32_e32 v49, v73, v49
	v_add_f32_e32 v73, v40, v52
	v_add_f32_e32 v97, v41, v53
	s_mov_b32 s16, 0xbe11bafb
	v_mul_f32_e32 v83, 0xbf7d64f0, v91
	v_mul_f32_e32 v87, 0xbe11bafb, v97
	v_fma_f32 v75, v73, s16, -v83
	v_sub_f32_e32 v76, v52, v40
	v_add_f32_e32 v48, v75, v48
	v_mov_b32_e32 v75, v87
	v_fmac_f32_e32 v75, 0xbf7d64f0, v76
	v_sub_f32_e32 v94, v37, v57
	v_add_f32_e32 v49, v75, v49
	v_add_f32_e32 v75, v56, v36
	v_add_f32_e32 v98, v57, v37
	s_mov_b32 s17, 0xbf27a4f4
	v_mul_f32_e32 v86, 0xbf4178ce, v94
	v_mul_f32_e32 v90, 0xbf27a4f4, v98
	v_fma_f32 v77, v75, s17, -v86
	v_sub_f32_e32 v78, v36, v56
	v_add_f32_e32 v48, v77, v48
	v_mov_b32_e32 v77, v90
	v_fmac_f32_e32 v77, 0xbf4178ce, v78
	v_sub_f32_e32 v96, v39, v55
	v_add_f32_e32 v49, v77, v49
	v_add_f32_e32 v77, v54, v38
	v_add_f32_e32 v99, v55, v39
	s_mov_b32 s18, 0xbf75a155
	v_mul_f32_e32 v89, 0xbe903f40, v96
	v_mul_f32_e32 v93, 0xbf75a155, v99
	v_fma_f32 v100, v77, s18, -v89
	v_sub_f32_e32 v79, v38, v54
	v_add_f32_e32 v48, v100, v48
	v_mov_b32_e32 v100, v93
	v_fmac_f32_e32 v100, 0xbe903f40, v79
	v_add_f32_e32 v49, v100, v49
	s_barrier
	s_and_saveexec_b64 s[4:5], s[0:1]
	s_cbranch_execz .LBB0_17
; %bb.16:
	v_mul_f32_e32 v116, 0xbf75a155, v92
	v_mov_b32_e32 v100, v116
	v_mul_f32_e32 v117, 0x3f575c64, v95
	v_fmac_f32_e32 v100, 0x3e903f40, v72
	v_mov_b32_e32 v101, v117
	v_add_f32_e32 v100, v45, v100
	v_fmac_f32_e32 v101, 0xbf0a6770, v74
	v_mul_f32_e32 v118, 0xbf27a4f4, v97
	v_add_f32_e32 v100, v101, v100
	v_mov_b32_e32 v101, v118
	v_fmac_f32_e32 v101, 0x3f4178ce, v76
	v_mul_f32_e32 v119, 0x3ed4b147, v98
	v_add_f32_e32 v100, v101, v100
	v_mov_b32_e32 v101, v119
	;; [unrolled: 4-line block ×4, first 2 shown]
	v_mul_f32_e32 v122, 0x3f0a6770, v88
	v_fmac_f32_e32 v100, 0xbf75a155, v70
	v_mov_b32_e32 v102, v122
	v_add_f32_e32 v100, v44, v100
	v_fmac_f32_e32 v102, 0x3f575c64, v71
	v_mul_f32_e32 v123, 0xbf4178ce, v91
	v_add_f32_e32 v100, v102, v100
	v_mov_b32_e32 v102, v123
	v_fmac_f32_e32 v102, 0xbf27a4f4, v73
	v_mul_f32_e32 v124, 0x3f68dda4, v94
	v_add_f32_e32 v100, v102, v100
	v_mov_b32_e32 v102, v124
	;; [unrolled: 4-line block ×4, first 2 shown]
	v_mul_f32_e32 v127, 0xbe11bafb, v95
	v_fmac_f32_e32 v102, 0x3f4178ce, v72
	v_mov_b32_e32 v103, v127
	v_add_f32_e32 v102, v45, v102
	v_fmac_f32_e32 v103, 0xbf7d64f0, v74
	v_mul_f32_e32 v128, 0x3f575c64, v97
	v_add_f32_e32 v102, v103, v102
	v_mov_b32_e32 v103, v128
	v_fmac_f32_e32 v103, 0x3f0a6770, v76
	v_mul_f32_e32 v129, 0xbf75a155, v98
	v_add_f32_e32 v47, v47, v45
	v_add_f32_e32 v102, v103, v102
	v_mov_b32_e32 v103, v129
	v_add_f32_e32 v47, v51, v47
	v_fmac_f32_e32 v103, 0x3e903f40, v78
	v_mul_f32_e32 v130, 0x3ed4b147, v99
	v_add_f32_e32 v47, v53, v47
	v_add_f32_e32 v102, v103, v102
	v_mov_b32_e32 v103, v130
	v_add_f32_e32 v37, v37, v47
	v_fmac_f32_e32 v103, 0xbf68dda4, v79
	v_mul_f32_e32 v131, 0xbf4178ce, v85
	v_add_f32_e32 v37, v39, v37
	v_add_f32_e32 v103, v103, v102
	v_mov_b32_e32 v102, v131
	v_mul_f32_e32 v132, 0x3f7d64f0, v88
	v_add_f32_e32 v37, v55, v37
	v_fmac_f32_e32 v102, 0xbf27a4f4, v70
	v_mov_b32_e32 v104, v132
	v_add_f32_e32 v37, v57, v37
	v_add_f32_e32 v102, v44, v102
	v_fmac_f32_e32 v104, 0xbe11bafb, v71
	v_mul_f32_e32 v133, 0xbf0a6770, v91
	v_add_f32_e32 v37, v41, v37
	v_add_f32_e32 v102, v104, v102
	v_mov_b32_e32 v104, v133
	v_add_f32_e32 v37, v43, v37
	v_fmac_f32_e32 v104, 0x3f575c64, v73
	v_mul_f32_e32 v134, 0xbe903f40, v94
	v_add_f32_e32 v3, v3, v37
	v_add_f32_e32 v37, v46, v44
	;; [unrolled: 1-line block ×3, first 2 shown]
	v_mov_b32_e32 v104, v134
	v_add_f32_e32 v37, v50, v37
	v_fmac_f32_e32 v104, 0xbf75a155, v75
	v_mul_f32_e32 v135, 0x3f68dda4, v96
	v_add_f32_e32 v37, v52, v37
	v_add_f32_e32 v102, v104, v102
	v_mov_b32_e32 v104, v135
	v_add_f32_e32 v36, v36, v37
	v_fmac_f32_e32 v104, 0x3ed4b147, v77
	v_mul_f32_e32 v136, 0xbe11bafb, v92
	v_add_f32_e32 v36, v38, v36
	v_add_f32_e32 v102, v104, v102
	v_mov_b32_e32 v104, v136
	v_mul_f32_e32 v137, 0xbf75a155, v95
	v_add_f32_e32 v36, v54, v36
	v_fmac_f32_e32 v104, 0x3f7d64f0, v72
	v_mov_b32_e32 v105, v137
	v_add_f32_e32 v36, v56, v36
	v_add_f32_e32 v104, v45, v104
	v_fmac_f32_e32 v105, 0xbe903f40, v74
	v_mul_f32_e32 v138, 0x3ed4b147, v97
	v_add_f32_e32 v36, v40, v36
	v_add_f32_e32 v104, v105, v104
	v_mov_b32_e32 v105, v138
	v_add_f32_e32 v36, v42, v36
	v_fmac_f32_e32 v116, 0xbe903f40, v72
	v_fmac_f32_e32 v105, 0xbf68dda4, v76
	v_mul_f32_e32 v139, 0x3f575c64, v98
	v_add_f32_e32 v2, v2, v36
	v_add_f32_e32 v36, v45, v116
	v_fmac_f32_e32 v117, 0x3f0a6770, v74
	v_add_f32_e32 v104, v105, v104
	v_mov_b32_e32 v105, v139
	v_add_f32_e32 v36, v117, v36
	v_fmac_f32_e32 v118, 0xbf4178ce, v76
	v_fmac_f32_e32 v105, 0x3f0a6770, v78
	v_mul_f32_e32 v140, 0xbf27a4f4, v99
	v_add_f32_e32 v36, v118, v36
	v_fmac_f32_e32 v119, 0x3f68dda4, v78
	v_add_f32_e32 v104, v105, v104
	v_mov_b32_e32 v105, v140
	v_add_f32_e32 v36, v119, v36
	v_fmac_f32_e32 v120, 0xbf7d64f0, v79
	v_fmac_f32_e32 v105, 0x3f4178ce, v79
	v_mul_f32_e32 v141, 0xbf7d64f0, v85
	v_add_f32_e32 v37, v120, v36
	v_fma_f32 v36, v70, s18, -v121
	v_add_f32_e32 v105, v105, v104
	v_mov_b32_e32 v104, v141
	v_mul_f32_e32 v142, 0x3e903f40, v88
	v_add_f32_e32 v36, v44, v36
	v_fma_f32 v38, v71, s14, -v122
	v_fmac_f32_e32 v104, 0xbe11bafb, v70
	v_mov_b32_e32 v143, v142
	v_add_f32_e32 v36, v38, v36
	v_fma_f32 v38, v73, s17, -v123
	v_add_f32_e32 v104, v44, v104
	v_fmac_f32_e32 v143, 0xbf75a155, v71
	v_add_f32_e32 v36, v38, v36
	v_fma_f32 v38, v75, s15, -v124
	v_add_f32_e32 v104, v143, v104
	v_mul_f32_e32 v143, 0x3f68dda4, v91
	v_add_f32_e32 v36, v38, v36
	v_fma_f32 v38, v77, s16, -v125
	v_fmac_f32_e32 v126, 0xbf4178ce, v72
	v_mov_b32_e32 v144, v143
	v_add_f32_e32 v36, v38, v36
	v_add_f32_e32 v38, v45, v126
	v_fmac_f32_e32 v127, 0x3f7d64f0, v74
	v_fmac_f32_e32 v144, 0x3ed4b147, v73
	v_add_f32_e32 v38, v127, v38
	v_fmac_f32_e32 v128, 0xbf0a6770, v76
	v_add_f32_e32 v104, v144, v104
	v_mul_f32_e32 v144, 0xbf0a6770, v94
	v_add_f32_e32 v38, v128, v38
	v_fmac_f32_e32 v129, 0xbe903f40, v78
	v_mov_b32_e32 v145, v144
	v_add_f32_e32 v38, v129, v38
	v_fmac_f32_e32 v130, 0x3f68dda4, v79
	v_fmac_f32_e32 v145, 0x3f575c64, v75
	v_add_f32_e32 v39, v130, v38
	v_fma_f32 v38, v70, s17, -v131
	v_add_f32_e32 v104, v145, v104
	v_mul_f32_e32 v145, 0xbf4178ce, v96
	v_add_f32_e32 v38, v44, v38
	v_fma_f32 v40, v71, s16, -v132
	v_mov_b32_e32 v146, v145
	v_add_f32_e32 v38, v40, v38
	v_fma_f32 v40, v73, s14, -v133
	v_fmac_f32_e32 v146, 0xbf27a4f4, v77
	v_add_f32_e32 v38, v40, v38
	v_fma_f32 v40, v75, s18, -v134
	v_add_f32_e32 v104, v146, v104
	v_mul_f32_e32 v146, 0x3ed4b147, v92
	v_add_f32_e32 v38, v40, v38
	v_fma_f32 v40, v77, s15, -v135
	v_fmac_f32_e32 v136, 0xbf7d64f0, v72
	v_mov_b32_e32 v92, v146
	v_mul_f32_e32 v95, 0xbf27a4f4, v95
	v_add_f32_e32 v38, v40, v38
	v_add_f32_e32 v40, v45, v136
	v_fmac_f32_e32 v137, 0x3e903f40, v74
	v_fmac_f32_e32 v92, 0x3f68dda4, v72
	v_mov_b32_e32 v147, v95
	v_add_f32_e32 v40, v137, v40
	v_fmac_f32_e32 v138, 0x3f68dda4, v76
	v_add_f32_e32 v92, v45, v92
	v_fmac_f32_e32 v147, 0x3f4178ce, v74
	v_mul_f32_e32 v97, 0xbf75a155, v97
	v_add_f32_e32 v40, v138, v40
	v_fmac_f32_e32 v139, 0xbf0a6770, v78
	v_add_f32_e32 v92, v147, v92
	v_mov_b32_e32 v147, v97
	v_add_f32_e32 v40, v139, v40
	v_fmac_f32_e32 v140, 0xbf4178ce, v79
	v_fmac_f32_e32 v147, 0xbe903f40, v76
	v_mul_f32_e32 v98, 0xbe11bafb, v98
	v_add_f32_e32 v41, v140, v40
	v_fma_f32 v40, v70, s16, -v141
	v_add_f32_e32 v92, v147, v92
	v_mov_b32_e32 v147, v98
	v_add_f32_e32 v40, v44, v40
	v_fma_f32 v42, v71, s18, -v142
	v_fmac_f32_e32 v147, 0xbf7d64f0, v78
	v_mul_f32_e32 v99, 0x3f575c64, v99
	v_add_f32_e32 v40, v42, v40
	v_fma_f32 v42, v73, s15, -v143
	v_add_f32_e32 v92, v147, v92
	v_mov_b32_e32 v147, v99
	v_add_f32_e32 v40, v42, v40
	v_fma_f32 v42, v75, s14, -v144
	v_fmac_f32_e32 v147, 0xbf0a6770, v79
	v_mul_f32_e32 v85, 0xbf68dda4, v85
	v_add_f32_e32 v40, v42, v40
	v_fma_f32 v42, v77, s17, -v145
	v_fmac_f32_e32 v146, 0xbf68dda4, v72
	v_add_f32_e32 v92, v147, v92
	v_mov_b32_e32 v147, v85
	v_mul_f32_e32 v88, 0xbf4178ce, v88
	v_add_f32_e32 v40, v42, v40
	v_add_f32_e32 v42, v45, v146
	v_fmac_f32_e32 v95, 0xbf4178ce, v74
	v_fmac_f32_e32 v147, 0x3ed4b147, v70
	v_mov_b32_e32 v148, v88
	v_add_f32_e32 v42, v95, v42
	v_fmac_f32_e32 v97, 0x3e903f40, v76
	v_add_f32_e32 v147, v44, v147
	v_fmac_f32_e32 v148, 0xbf27a4f4, v71
	;; [unrolled: 2-line block ×3, first 2 shown]
	v_mul_f32_e32 v106, 0x3f575c64, v70
	v_mul_f32_e32 v107, 0xbf0a6770, v72
	v_add_f32_e32 v147, v148, v147
	v_mul_f32_e32 v148, 0x3e903f40, v91
	v_add_f32_e32 v42, v98, v42
	v_fmac_f32_e32 v99, 0x3f0a6770, v79
	v_mul_f32_e32 v108, 0x3ed4b147, v71
	v_mul_f32_e32 v109, 0xbf68dda4, v74
	v_mov_b32_e32 v91, v148
	v_sub_f32_e32 v82, v82, v107
	v_add_f32_e32 v80, v106, v80
	v_add_f32_e32 v43, v99, v42
	v_fma_f32 v42, v70, s15, -v85
	v_mul_f32_e32 v110, 0xbe11bafb, v73
	v_mul_f32_e32 v111, 0xbf7d64f0, v76
	v_fmac_f32_e32 v91, 0xbf75a155, v73
	v_mul_f32_e32 v94, 0x3f7d64f0, v94
	v_add_f32_e32 v82, v45, v82
	v_sub_f32_e32 v84, v84, v109
	v_add_f32_e32 v80, v44, v80
	v_add_f32_e32 v81, v108, v81
	;; [unrolled: 1-line block ×3, first 2 shown]
	v_fma_f32 v44, v71, s17, -v88
	v_mul_f32_e32 v112, 0xbf27a4f4, v75
	v_mul_f32_e32 v113, 0xbf4178ce, v78
	v_add_f32_e32 v91, v91, v147
	v_mov_b32_e32 v147, v94
	v_add_f32_e32 v82, v84, v82
	v_sub_f32_e32 v84, v87, v111
	v_add_f32_e32 v80, v81, v80
	v_add_f32_e32 v81, v110, v83
	;; [unrolled: 1-line block ×3, first 2 shown]
	v_fma_f32 v44, v73, s18, -v148
	v_mul_f32_e32 v114, 0xbf75a155, v77
	v_mul_f32_e32 v115, 0xbe903f40, v79
	v_fmac_f32_e32 v147, 0xbe11bafb, v75
	v_mul_f32_e32 v96, 0x3f0a6770, v96
	v_add_f32_e32 v82, v84, v82
	v_sub_f32_e32 v84, v90, v113
	v_add_f32_e32 v80, v81, v80
	v_add_f32_e32 v81, v112, v86
	;; [unrolled: 1-line block ×3, first 2 shown]
	v_fma_f32 v44, v75, s16, -v94
	v_add_f32_e32 v91, v147, v91
	v_mov_b32_e32 v147, v96
	v_add_f32_e32 v82, v84, v82
	v_sub_f32_e32 v84, v93, v115
	v_add_f32_e32 v80, v81, v80
	v_add_f32_e32 v81, v114, v89
	;; [unrolled: 1-line block ×3, first 2 shown]
	v_fma_f32 v44, v77, s14, -v96
	v_fmac_f32_e32 v147, 0x3f575c64, v77
	v_add_f32_e32 v82, v84, v82
	v_add_f32_e32 v81, v81, v80
	;; [unrolled: 1-line block ×3, first 2 shown]
	v_lshl_add_u32 v44, v65, 3, v64
	v_add_f32_e32 v91, v147, v91
	ds_write2_b64 v44, v[2:3], v[81:82] offset1:1
	ds_write2_b64 v44, v[91:92], v[104:105] offset0:2 offset1:3
	ds_write2_b64 v44, v[102:103], v[100:101] offset0:4 offset1:5
	;; [unrolled: 1-line block ×4, first 2 shown]
	ds_write_b64 v44, v[48:49] offset:80
.LBB0_17:
	s_or_b64 exec, exec, s[4:5]
	s_waitcnt lgkmcnt(0)
	s_barrier
	ds_read2_b64 v[36:39], v66 offset1:33
	ds_read2_b64 v[40:43], v66 offset0:66 offset1:99
	ds_read2_b64 v[44:47], v66 offset0:132 offset1:165
	ds_read2_b64 v[50:53], v66 offset0:198 offset1:231
	v_add_u32_e32 v2, 0x800, v66
	ds_read2_b64 v[54:57], v2 offset0:8 offset1:41
	s_waitcnt lgkmcnt(4)
	v_mul_f32_e32 v64, v17, v39
	v_mul_f32_e32 v2, v17, v38
	s_waitcnt lgkmcnt(3)
	v_mul_f32_e32 v17, v13, v43
	v_mul_f32_e32 v13, v13, v42
	v_fmac_f32_e32 v17, v12, v42
	v_fma_f32 v12, v12, v43, -v13
	s_waitcnt lgkmcnt(2)
	v_mul_f32_e32 v13, v15, v45
	v_mul_f32_e32 v15, v15, v44
	v_fmac_f32_e32 v13, v14, v44
	v_fma_f32 v14, v14, v45, -v15
	v_mul_f32_e32 v15, v9, v47
	v_mul_f32_e32 v9, v9, v46
	v_fmac_f32_e32 v15, v8, v46
	v_fma_f32 v8, v8, v47, -v9
	s_waitcnt lgkmcnt(1)
	v_mul_f32_e32 v9, v11, v51
	v_mul_f32_e32 v11, v11, v50
	v_fmac_f32_e32 v9, v10, v50
	v_fma_f32 v10, v10, v51, -v11
	v_mul_f32_e32 v11, v5, v53
	v_mul_f32_e32 v5, v5, v52
	v_fmac_f32_e32 v64, v16, v38
	v_mul_f32_e32 v3, v19, v40
	v_fmac_f32_e32 v11, v4, v52
	v_fma_f32 v4, v4, v53, -v5
	s_waitcnt lgkmcnt(0)
	v_mul_f32_e32 v5, v7, v55
	v_mul_f32_e32 v7, v7, v54
	v_add_f32_e32 v38, v13, v9
	v_fma_f32 v16, v16, v39, -v2
	v_mul_f32_e32 v2, v19, v41
	v_fma_f32 v3, v18, v41, -v3
	v_fmac_f32_e32 v5, v6, v54
	v_fma_f32 v6, v6, v55, -v7
	v_fma_f32 v38, -0.5, v38, v36
	v_fmac_f32_e32 v2, v18, v40
	v_sub_f32_e32 v39, v3, v6
	v_mov_b32_e32 v40, v38
	v_fmac_f32_e32 v40, 0xbf737871, v39
	v_sub_f32_e32 v41, v14, v10
	v_sub_f32_e32 v42, v2, v13
	;; [unrolled: 1-line block ×3, first 2 shown]
	v_fmac_f32_e32 v38, 0x3f737871, v39
	v_fmac_f32_e32 v40, 0xbf167918, v41
	v_add_f32_e32 v42, v42, v43
	v_fmac_f32_e32 v38, 0x3f167918, v41
	v_fmac_f32_e32 v40, 0x3e9e377a, v42
	;; [unrolled: 1-line block ×3, first 2 shown]
	v_add_f32_e32 v42, v2, v5
	v_add_f32_e32 v19, v36, v2
	v_fma_f32 v36, -0.5, v42, v36
	v_mov_b32_e32 v42, v36
	v_fmac_f32_e32 v42, 0x3f737871, v41
	v_sub_f32_e32 v43, v13, v2
	v_sub_f32_e32 v44, v9, v5
	v_fmac_f32_e32 v36, 0xbf737871, v41
	v_add_f32_e32 v41, v14, v10
	v_add_f32_e32 v19, v19, v13
	v_fmac_f32_e32 v42, 0xbf167918, v39
	v_add_f32_e32 v43, v43, v44
	v_fmac_f32_e32 v36, 0x3f167918, v39
	v_fma_f32 v41, -0.5, v41, v37
	v_add_f32_e32 v19, v19, v9
	v_fmac_f32_e32 v42, 0x3e9e377a, v43
	v_fmac_f32_e32 v36, 0x3e9e377a, v43
	v_sub_f32_e32 v2, v2, v5
	v_mov_b32_e32 v43, v41
	v_add_f32_e32 v19, v19, v5
	v_fmac_f32_e32 v43, 0x3f737871, v2
	v_sub_f32_e32 v5, v13, v9
	v_sub_f32_e32 v9, v3, v14
	;; [unrolled: 1-line block ×3, first 2 shown]
	v_fmac_f32_e32 v41, 0xbf737871, v2
	v_fmac_f32_e32 v43, 0x3f167918, v5
	v_add_f32_e32 v9, v9, v13
	v_fmac_f32_e32 v41, 0xbf167918, v5
	v_fmac_f32_e32 v43, 0x3e9e377a, v9
	;; [unrolled: 1-line block ×3, first 2 shown]
	v_add_f32_e32 v9, v3, v6
	v_add_f32_e32 v39, v37, v3
	v_fma_f32 v37, -0.5, v9, v37
	v_mov_b32_e32 v44, v37
	v_fmac_f32_e32 v44, 0xbf737871, v5
	v_fmac_f32_e32 v37, 0x3f737871, v5
	;; [unrolled: 1-line block ×4, first 2 shown]
	v_add_f32_e32 v2, v64, v17
	v_mul_f32_e32 v7, v60, v57
	v_add_f32_e32 v2, v2, v15
	v_fmac_f32_e32 v7, v59, v56
	v_add_f32_e32 v39, v39, v14
	v_add_f32_e32 v2, v2, v11
	v_mul_f32_e32 v18, v60, v56
	v_add_f32_e32 v39, v39, v10
	v_add_f32_e32 v13, v2, v7
	;; [unrolled: 1-line block ×3, first 2 shown]
	v_fma_f32 v18, v59, v57, -v18
	v_add_f32_e32 v39, v39, v6
	v_sub_f32_e32 v3, v14, v3
	v_sub_f32_e32 v6, v10, v6
	v_fma_f32 v14, -0.5, v2, v64
	v_add_f32_e32 v3, v3, v6
	v_sub_f32_e32 v2, v12, v18
	v_mov_b32_e32 v5, v14
	v_fmac_f32_e32 v44, 0x3e9e377a, v3
	v_fmac_f32_e32 v37, 0x3e9e377a, v3
	;; [unrolled: 1-line block ×3, first 2 shown]
	v_sub_f32_e32 v3, v8, v4
	v_sub_f32_e32 v6, v17, v15
	;; [unrolled: 1-line block ×3, first 2 shown]
	v_fmac_f32_e32 v14, 0x3f737871, v2
	v_fmac_f32_e32 v5, 0xbf167918, v3
	v_add_f32_e32 v6, v6, v9
	v_fmac_f32_e32 v14, 0x3f167918, v3
	v_fmac_f32_e32 v5, 0x3e9e377a, v6
	;; [unrolled: 1-line block ×3, first 2 shown]
	v_add_f32_e32 v6, v17, v7
	v_fmac_f32_e32 v64, -0.5, v6
	v_mov_b32_e32 v9, v64
	v_fmac_f32_e32 v9, 0x3f737871, v3
	v_fmac_f32_e32 v64, 0xbf737871, v3
	;; [unrolled: 1-line block ×4, first 2 shown]
	v_add_f32_e32 v2, v16, v12
	v_add_f32_e32 v2, v2, v8
	v_add_f32_e32 v2, v2, v4
	v_add_f32_e32 v45, v2, v18
	v_add_f32_e32 v2, v8, v4
	v_sub_f32_e32 v6, v15, v17
	v_sub_f32_e32 v10, v11, v7
	v_fma_f32 v46, -0.5, v2, v16
	v_add_f32_e32 v6, v6, v10
	v_sub_f32_e32 v2, v17, v7
	v_mov_b32_e32 v7, v46
	v_fmac_f32_e32 v9, 0x3e9e377a, v6
	v_fmac_f32_e32 v64, 0x3e9e377a, v6
	;; [unrolled: 1-line block ×3, first 2 shown]
	v_sub_f32_e32 v3, v15, v11
	v_sub_f32_e32 v6, v12, v8
	;; [unrolled: 1-line block ×3, first 2 shown]
	v_fmac_f32_e32 v46, 0xbf737871, v2
	v_fmac_f32_e32 v7, 0x3f167918, v3
	v_add_f32_e32 v6, v6, v10
	v_fmac_f32_e32 v46, 0xbf167918, v3
	v_fmac_f32_e32 v7, 0x3e9e377a, v6
	;; [unrolled: 1-line block ×3, first 2 shown]
	v_add_f32_e32 v6, v12, v18
	v_fmac_f32_e32 v16, -0.5, v6
	v_mov_b32_e32 v11, v16
	v_fmac_f32_e32 v11, 0xbf737871, v3
	v_sub_f32_e32 v6, v8, v12
	v_sub_f32_e32 v4, v4, v18
	v_fmac_f32_e32 v16, 0x3f737871, v3
	v_fmac_f32_e32 v11, 0x3f167918, v2
	v_add_f32_e32 v4, v6, v4
	v_fmac_f32_e32 v16, 0xbf167918, v2
	v_fmac_f32_e32 v11, 0x3e9e377a, v4
	;; [unrolled: 1-line block ×3, first 2 shown]
	v_mul_f32_e32 v15, 0xbf167918, v7
	v_mul_f32_e32 v17, 0xbf737871, v11
	;; [unrolled: 1-line block ×8, first 2 shown]
	v_fmac_f32_e32 v15, 0x3f4f1bbd, v5
	v_fmac_f32_e32 v17, 0x3e9e377a, v9
	;; [unrolled: 1-line block ×8, first 2 shown]
	v_add_f32_e32 v2, v19, v13
	v_add_f32_e32 v4, v40, v15
	;; [unrolled: 1-line block ×10, first 2 shown]
	v_sub_f32_e32 v12, v19, v13
	v_sub_f32_e32 v14, v40, v15
	;; [unrolled: 1-line block ×10, first 2 shown]
	s_barrier
	ds_write2_b64 v68, v[2:3], v[4:5] offset1:11
	ds_write2_b64 v68, v[6:7], v[8:9] offset0:22 offset1:33
	ds_write2_b64 v68, v[10:11], v[12:13] offset0:44 offset1:55
	;; [unrolled: 1-line block ×4, first 2 shown]
	s_waitcnt lgkmcnt(0)
	s_barrier
	ds_read2_b64 v[6:9], v66 offset1:33
	ds_read2_b64 v[2:5], v66 offset0:66 offset1:110
	ds_read2_b64 v[14:17], v66 offset0:220 offset1:253
	;; [unrolled: 1-line block ×3, first 2 shown]
	ds_read_b64 v[18:19], v66 offset:2288
	v_add_u32_e32 v37, 0x108, v69
	v_add_u32_e32 v36, 0x210, v69
	s_and_saveexec_b64 s[4:5], s[2:3]
	s_cbranch_execz .LBB0_19
; %bb.18:
	ds_read2_b64 v[46:49], v66 offset0:99 offset1:209
	ds_read_b64 v[0:1], v66 offset:2552
.LBB0_19:
	s_or_b64 exec, exec, s[4:5]
	s_waitcnt lgkmcnt(3)
	v_mul_f32_e32 v38, v25, v5
	v_fmac_f32_e32 v38, v24, v4
	v_mul_f32_e32 v4, v25, v4
	v_fma_f32 v24, v24, v5, -v4
	s_waitcnt lgkmcnt(2)
	v_mul_f32_e32 v25, v27, v15
	v_mul_f32_e32 v4, v27, v14
	v_fmac_f32_e32 v25, v26, v14
	v_fma_f32 v14, v26, v15, -v4
	s_waitcnt lgkmcnt(1)
	v_mul_f32_e32 v4, v29, v10
	v_fma_f32 v26, v28, v11, -v4
	v_mul_f32_e32 v27, v31, v17
	v_mul_f32_e32 v4, v31, v16
	v_fmac_f32_e32 v27, v30, v16
	v_fma_f32 v16, v30, v17, -v4
	v_mul_f32_e32 v4, v33, v12
	v_mul_f32_e32 v15, v29, v11
	v_fma_f32 v29, v32, v13, -v4
	s_waitcnt lgkmcnt(0)
	v_mul_f32_e32 v4, v35, v18
	v_add_f32_e32 v5, v38, v25
	v_mul_f32_e32 v30, v35, v19
	v_fma_f32 v19, v34, v19, -v4
	v_add_f32_e32 v4, v6, v38
	v_fma_f32 v6, -0.5, v5, v6
	v_fmac_f32_e32 v15, v28, v10
	v_sub_f32_e32 v5, v24, v14
	v_mov_b32_e32 v10, v6
	v_add_f32_e32 v11, v24, v14
	v_mul_f32_e32 v28, v33, v13
	v_fmac_f32_e32 v10, 0xbf5db3d7, v5
	v_fmac_f32_e32 v6, 0x3f5db3d7, v5
	v_add_f32_e32 v5, v7, v24
	v_fma_f32 v7, -0.5, v11, v7
	v_fmac_f32_e32 v28, v32, v12
	v_sub_f32_e32 v12, v38, v25
	v_mov_b32_e32 v11, v7
	v_add_f32_e32 v13, v15, v27
	v_fmac_f32_e32 v11, 0x3f5db3d7, v12
	v_fmac_f32_e32 v7, 0xbf5db3d7, v12
	v_add_f32_e32 v12, v8, v15
	v_fma_f32 v8, -0.5, v13, v8
	v_add_f32_e32 v5, v5, v14
	v_sub_f32_e32 v13, v26, v16
	v_mov_b32_e32 v14, v8
	v_fmac_f32_e32 v14, 0xbf5db3d7, v13
	v_fmac_f32_e32 v8, 0x3f5db3d7, v13
	v_add_f32_e32 v13, v9, v26
	v_add_f32_e32 v13, v13, v16
	;; [unrolled: 1-line block ×3, first 2 shown]
	v_fmac_f32_e32 v30, v34, v18
	v_fmac_f32_e32 v9, -0.5, v16
	v_sub_f32_e32 v16, v15, v27
	v_mov_b32_e32 v15, v9
	v_add_f32_e32 v17, v28, v30
	v_fmac_f32_e32 v15, 0x3f5db3d7, v16
	v_fmac_f32_e32 v9, 0xbf5db3d7, v16
	v_add_f32_e32 v16, v2, v28
	v_fma_f32 v2, -0.5, v17, v2
	v_sub_f32_e32 v17, v29, v19
	v_mov_b32_e32 v18, v2
	v_fmac_f32_e32 v18, 0xbf5db3d7, v17
	v_fmac_f32_e32 v2, 0x3f5db3d7, v17
	v_add_f32_e32 v17, v3, v29
	v_add_f32_e32 v17, v17, v19
	v_add_f32_e32 v19, v29, v19
	v_fmac_f32_e32 v3, -0.5, v19
	v_sub_f32_e32 v24, v28, v30
	v_mov_b32_e32 v19, v3
	v_add_f32_e32 v4, v4, v25
	v_add_f32_e32 v12, v12, v27
	;; [unrolled: 1-line block ×3, first 2 shown]
	v_fmac_f32_e32 v19, 0x3f5db3d7, v24
	v_fmac_f32_e32 v3, 0xbf5db3d7, v24
	ds_write2_b64 v67, v[10:11], v[6:7] offset0:110 offset1:220
	ds_write2_b64 v67, v[4:5], v[12:13] offset1:33
	ds_write2_b64 v37, v[14:15], v[8:9] offset0:110 offset1:220
	ds_write_b64 v67, v[16:17] offset:528
	ds_write2_b64 v36, v[18:19], v[2:3] offset0:110 offset1:220
	v_lshl_add_u32 v2, v63, 3, v61
	s_and_saveexec_b64 s[4:5], s[2:3]
	s_cbranch_execz .LBB0_21
; %bb.20:
	v_mul_f32_e32 v3, v21, v48
	v_fma_f32 v5, v20, v49, -v3
	v_mul_f32_e32 v3, v23, v0
	v_fma_f32 v7, v22, v1, -v3
	v_add_f32_e32 v3, v5, v7
	v_mul_f32_e32 v8, v21, v49
	v_mul_f32_e32 v9, v23, v1
	v_fma_f32 v4, -0.5, v3, v47
	v_fmac_f32_e32 v8, v20, v48
	v_fmac_f32_e32 v9, v22, v0
	v_sub_f32_e32 v0, v8, v9
	v_mov_b32_e32 v1, v4
	v_fmac_f32_e32 v1, 0xbf5db3d7, v0
	v_fmac_f32_e32 v4, 0x3f5db3d7, v0
	v_add_f32_e32 v0, v47, v5
	v_add_f32_e32 v6, v0, v7
	;; [unrolled: 1-line block ×3, first 2 shown]
	v_fma_f32 v3, -0.5, v0, v46
	v_sub_f32_e32 v5, v5, v7
	v_mov_b32_e32 v0, v3
	v_fmac_f32_e32 v0, 0x3f5db3d7, v5
	v_fmac_f32_e32 v3, 0xbf5db3d7, v5
	v_add_f32_e32 v5, v46, v8
	v_add_f32_e32 v5, v5, v9
	ds_write2_b64 v2, v[5:6], v[3:4] offset0:99 offset1:209
	ds_write_b64 v2, v[0:1] offset:2552
.LBB0_21:
	s_or_b64 exec, exec, s[4:5]
	s_waitcnt lgkmcnt(0)
	s_barrier
	s_and_b64 exec, exec, s[0:1]
	s_cbranch_execz .LBB0_23
; %bb.22:
	global_load_dwordx2 v[0:1], v61, s[6:7]
	global_load_dwordx2 v[11:12], v61, s[6:7] offset:240
	global_load_dwordx2 v[13:14], v61, s[6:7] offset:480
	;; [unrolled: 1-line block ×4, first 2 shown]
	ds_read_b64 v[21:22], v67
	ds_read2_b64 v[3:6], v2 offset0:30 offset1:60
	ds_read2_b64 v[7:10], v2 offset0:90 offset1:120
	global_load_dwordx2 v[25:26], v61, s[6:7] offset:1200
	global_load_dwordx2 v[27:28], v61, s[6:7] offset:1440
	;; [unrolled: 1-line block ×3, first 2 shown]
	v_mad_u64_u32 v[19:20], s[0:1], s10, v58, 0
	v_mad_u64_u32 v[23:24], s[2:3], s8, v62, 0
	s_mul_i32 s3, s9, 0xf0
	s_mul_hi_u32 s4, s8, 0xf0
	s_add_i32 s3, s4, s3
	s_waitcnt lgkmcnt(2)
	v_mad_u64_u32 v[31:32], s[4:5], s11, v58, v[20:21]
	v_mov_b32_e32 v34, s13
	s_mul_i32 s2, s8, 0xf0
	v_mov_b32_e32 v20, v31
	v_lshlrev_b64 v[19:20], 3, v[19:20]
	v_mov_b32_e32 v35, s3
	v_add_co_u32_e32 v19, vcc, s12, v19
	v_addc_co_u32_e32 v20, vcc, v34, v20, vcc
	s_mov_b32 s0, 0x8d3018d3
	s_mov_b32 s1, 0x3f68d301
	s_waitcnt vmcnt(6) lgkmcnt(1)
	v_mul_f32_e32 v34, v4, v12
	v_mul_f32_e32 v12, v3, v12
	s_waitcnt vmcnt(4) lgkmcnt(0)
	v_mul_f32_e32 v36, v8, v16
	v_mul_f32_e32 v16, v7, v16
	v_fmac_f32_e32 v34, v3, v11
	s_waitcnt vmcnt(2)
	v_mad_u64_u32 v[32:33], s[4:5], s9, v62, v[24:25]
	v_mov_b32_e32 v33, s3
	v_fma_f32 v11, v11, v4, -v12
	v_mov_b32_e32 v24, v32
	v_lshlrev_b64 v[23:24], 3, v[23:24]
	v_mul_f32_e32 v37, v10, v18
	v_add_co_u32_e32 v19, vcc, v19, v23
	v_addc_co_u32_e32 v20, vcc, v20, v24, vcc
	v_add_co_u32_e32 v23, vcc, s2, v19
	v_addc_co_u32_e32 v24, vcc, v20, v33, vcc
	v_mul_f32_e32 v33, v22, v1
	v_mul_f32_e32 v1, v21, v1
	v_add_co_u32_e32 v31, vcc, s2, v23
	v_fmac_f32_e32 v33, v21, v0
	v_fma_f32 v21, v0, v22, -v1
	v_addc_co_u32_e32 v32, vcc, v24, v35, vcc
	v_mul_f32_e32 v35, v6, v14
	v_mul_f32_e32 v14, v5, v14
	v_cvt_f64_f32_e32 v[0:1], v33
	v_cvt_f64_f32_e32 v[3:4], v21
	v_mul_f32_e32 v18, v9, v18
	v_fmac_f32_e32 v35, v5, v13
	v_fma_f32 v12, v13, v6, -v14
	v_fmac_f32_e32 v36, v7, v15
	v_fma_f32 v15, v15, v8, -v16
	v_cvt_f64_f32_e32 v[5:6], v34
	v_cvt_f64_f32_e32 v[7:8], v11
	v_fmac_f32_e32 v37, v9, v17
	v_fma_f32 v38, v17, v10, -v18
	v_cvt_f64_f32_e32 v[9:10], v35
	v_cvt_f64_f32_e32 v[11:12], v12
	global_load_dwordx2 v[21:22], v61, s[6:7] offset:1920
	v_mul_f64 v[0:1], v[0:1], s[0:1]
	v_mul_f64 v[3:4], v[3:4], s[0:1]
	;; [unrolled: 1-line block ×6, first 2 shown]
	v_cvt_f64_f32_e32 v[15:16], v15
	v_cvt_f64_f32_e32 v[13:14], v36
	v_cvt_f32_f64_e32 v0, v[0:1]
	v_cvt_f32_f64_e32 v1, v[3:4]
	;; [unrolled: 1-line block ×6, first 2 shown]
	global_store_dwordx2 v[19:20], v[0:1], off
	global_store_dwordx2 v[23:24], v[3:4], off
	;; [unrolled: 1-line block ×3, first 2 shown]
	v_mul_f64 v[15:16], v[15:16], s[0:1]
	global_load_dwordx2 v[9:10], v61, s[6:7] offset:2160
	v_mul_f64 v[13:14], v[13:14], s[0:1]
	v_cvt_f64_f32_e32 v[17:18], v37
	v_cvt_f64_f32_e32 v[0:1], v38
	ds_read2_b64 v[3:6], v2 offset0:150 offset1:180
	v_mul_f64 v[11:12], v[17:18], s[0:1]
	v_cvt_f32_f64_e32 v8, v[15:16]
	global_load_dwordx2 v[15:16], v61, s[6:7] offset:2400
	v_cvt_f32_f64_e32 v7, v[13:14]
	v_mov_b32_e32 v14, s3
	v_mul_f64 v[0:1], v[0:1], s[0:1]
	v_add_co_u32_e32 v13, vcc, s2, v31
	v_addc_co_u32_e32 v14, vcc, v32, v14, vcc
	global_store_dwordx2 v[13:14], v[7:8], off
	s_waitcnt lgkmcnt(0)
	v_mul_f32_e32 v8, v4, v26
	v_fmac_f32_e32 v8, v3, v25
	v_cvt_f32_f64_e32 v7, v[11:12]
	v_cvt_f64_f32_e32 v[11:12], v8
	v_cvt_f32_f64_e32 v8, v[0:1]
	v_mul_f32_e32 v3, v3, v26
	v_fma_f32 v3, v25, v4, -v3
	v_mul_f64 v[0:1], v[11:12], s[0:1]
	v_cvt_f64_f32_e32 v[3:4], v3
	v_mov_b32_e32 v17, s3
	v_add_co_u32_e32 v11, vcc, s2, v13
	v_mul_f64 v[3:4], v[3:4], s[0:1]
	v_addc_co_u32_e32 v12, vcc, v14, v17, vcc
	v_cvt_f32_f64_e32 v0, v[0:1]
	s_waitcnt vmcnt(8)
	v_mul_f32_e32 v1, v6, v28
	v_fmac_f32_e32 v1, v5, v27
	global_store_dwordx2 v[11:12], v[7:8], off
	v_cvt_f64_f32_e32 v[7:8], v1
	v_mul_f32_e32 v1, v5, v28
	v_fma_f32 v1, v27, v6, -v1
	v_cvt_f64_f32_e32 v[5:6], v1
	v_cvt_f32_f64_e32 v1, v[3:4]
	v_add_co_u32_e32 v11, vcc, s2, v11
	v_mul_f64 v[13:14], v[5:6], s[0:1]
	ds_read2_b64 v[3:6], v2 offset0:210 offset1:240
	v_addc_co_u32_e32 v12, vcc, v12, v17, vcc
	global_store_dwordx2 v[11:12], v[0:1], off
	v_mul_f64 v[7:8], v[7:8], s[0:1]
	s_waitcnt vmcnt(9) lgkmcnt(0)
	v_mul_f32_e32 v0, v4, v30
	v_fmac_f32_e32 v0, v3, v29
	v_cvt_f64_f32_e32 v[0:1], v0
	v_mul_f32_e32 v3, v3, v30
	v_fma_f32 v3, v29, v4, -v3
	v_cvt_f64_f32_e32 v[3:4], v3
	v_mul_f64 v[0:1], v[0:1], s[0:1]
	v_cvt_f32_f64_e32 v7, v[7:8]
	v_cvt_f32_f64_e32 v8, v[13:14]
	v_mov_b32_e32 v13, s3
	v_add_co_u32_e32 v11, vcc, s2, v11
	v_addc_co_u32_e32 v12, vcc, v12, v13, vcc
	v_mul_f64 v[3:4], v[3:4], s[0:1]
	global_store_dwordx2 v[11:12], v[7:8], off
	v_cvt_f32_f64_e32 v7, v[0:1]
	s_waitcnt vmcnt(9)
	v_mul_f32_e32 v0, v6, v22
	v_fmac_f32_e32 v0, v5, v21
	v_mul_f32_e32 v5, v5, v22
	v_fma_f32 v5, v21, v6, -v5
	v_cvt_f64_f32_e32 v[5:6], v5
	v_cvt_f64_f32_e32 v[0:1], v0
	v_cvt_f32_f64_e32 v8, v[3:4]
	v_mov_b32_e32 v3, s3
	v_mul_f64 v[4:5], v[5:6], s[0:1]
	v_mul_f64 v[13:14], v[0:1], s[0:1]
	v_add_co_u32_e32 v11, vcc, s2, v11
	v_add_u32_e32 v0, 0x800, v2
	v_addc_co_u32_e32 v12, vcc, v12, v3, vcc
	ds_read2_b64 v[0:3], v0 offset0:14 offset1:44
	global_store_dwordx2 v[11:12], v[7:8], off
	v_cvt_f32_f64_e32 v7, v[4:5]
	v_cvt_f32_f64_e32 v6, v[13:14]
	v_mov_b32_e32 v13, s3
	s_waitcnt vmcnt(6) lgkmcnt(0)
	v_mul_f32_e32 v4, v1, v10
	v_fmac_f32_e32 v4, v0, v9
	v_mul_f32_e32 v0, v0, v10
	v_fma_f32 v0, v9, v1, -v0
	v_cvt_f64_f32_e32 v[4:5], v4
	v_cvt_f64_f32_e32 v[0:1], v0
	v_add_co_u32_e32 v8, vcc, s2, v11
	v_addc_co_u32_e32 v9, vcc, v12, v13, vcc
	v_mul_f64 v[4:5], v[4:5], s[0:1]
	v_mul_f64 v[0:1], v[0:1], s[0:1]
	global_store_dwordx2 v[8:9], v[6:7], off
	s_waitcnt vmcnt(6)
	v_mul_f32_e32 v6, v3, v16
	v_fmac_f32_e32 v6, v2, v15
	v_mul_f32_e32 v2, v2, v16
	v_fma_f32 v2, v15, v3, -v2
	v_cvt_f64_f32_e32 v[6:7], v6
	v_cvt_f64_f32_e32 v[2:3], v2
	v_cvt_f32_f64_e32 v4, v[4:5]
	v_cvt_f32_f64_e32 v5, v[0:1]
	v_mul_f64 v[0:1], v[6:7], s[0:1]
	v_mul_f64 v[2:3], v[2:3], s[0:1]
	v_mov_b32_e32 v7, s3
	v_add_co_u32_e32 v6, vcc, s2, v8
	v_addc_co_u32_e32 v7, vcc, v9, v7, vcc
	global_store_dwordx2 v[6:7], v[4:5], off
	v_cvt_f32_f64_e32 v0, v[0:1]
	v_cvt_f32_f64_e32 v1, v[2:3]
	v_mov_b32_e32 v3, s3
	v_add_co_u32_e32 v2, vcc, s2, v6
	v_addc_co_u32_e32 v3, vcc, v7, v3, vcc
	global_store_dwordx2 v[2:3], v[0:1], off
.LBB0_23:
	s_endpgm
	.section	.rodata,"a",@progbits
	.p2align	6, 0x0
	.amdhsa_kernel bluestein_single_fwd_len330_dim1_sp_op_CI_CI
		.amdhsa_group_segment_fixed_size 7920
		.amdhsa_private_segment_fixed_size 0
		.amdhsa_kernarg_size 104
		.amdhsa_user_sgpr_count 6
		.amdhsa_user_sgpr_private_segment_buffer 1
		.amdhsa_user_sgpr_dispatch_ptr 0
		.amdhsa_user_sgpr_queue_ptr 0
		.amdhsa_user_sgpr_kernarg_segment_ptr 1
		.amdhsa_user_sgpr_dispatch_id 0
		.amdhsa_user_sgpr_flat_scratch_init 0
		.amdhsa_user_sgpr_private_segment_size 0
		.amdhsa_uses_dynamic_stack 0
		.amdhsa_system_sgpr_private_segment_wavefront_offset 0
		.amdhsa_system_sgpr_workgroup_id_x 1
		.amdhsa_system_sgpr_workgroup_id_y 0
		.amdhsa_system_sgpr_workgroup_id_z 0
		.amdhsa_system_sgpr_workgroup_info 0
		.amdhsa_system_vgpr_workitem_id 0
		.amdhsa_next_free_vgpr 149
		.amdhsa_next_free_sgpr 20
		.amdhsa_reserve_vcc 1
		.amdhsa_reserve_flat_scratch 0
		.amdhsa_float_round_mode_32 0
		.amdhsa_float_round_mode_16_64 0
		.amdhsa_float_denorm_mode_32 3
		.amdhsa_float_denorm_mode_16_64 3
		.amdhsa_dx10_clamp 1
		.amdhsa_ieee_mode 1
		.amdhsa_fp16_overflow 0
		.amdhsa_exception_fp_ieee_invalid_op 0
		.amdhsa_exception_fp_denorm_src 0
		.amdhsa_exception_fp_ieee_div_zero 0
		.amdhsa_exception_fp_ieee_overflow 0
		.amdhsa_exception_fp_ieee_underflow 0
		.amdhsa_exception_fp_ieee_inexact 0
		.amdhsa_exception_int_div_zero 0
	.end_amdhsa_kernel
	.text
.Lfunc_end0:
	.size	bluestein_single_fwd_len330_dim1_sp_op_CI_CI, .Lfunc_end0-bluestein_single_fwd_len330_dim1_sp_op_CI_CI
                                        ; -- End function
	.section	.AMDGPU.csdata,"",@progbits
; Kernel info:
; codeLenInByte = 10872
; NumSgprs: 24
; NumVgprs: 149
; ScratchSize: 0
; MemoryBound: 0
; FloatMode: 240
; IeeeMode: 1
; LDSByteSize: 7920 bytes/workgroup (compile time only)
; SGPRBlocks: 2
; VGPRBlocks: 37
; NumSGPRsForWavesPerEU: 24
; NumVGPRsForWavesPerEU: 149
; Occupancy: 1
; WaveLimiterHint : 1
; COMPUTE_PGM_RSRC2:SCRATCH_EN: 0
; COMPUTE_PGM_RSRC2:USER_SGPR: 6
; COMPUTE_PGM_RSRC2:TRAP_HANDLER: 0
; COMPUTE_PGM_RSRC2:TGID_X_EN: 1
; COMPUTE_PGM_RSRC2:TGID_Y_EN: 0
; COMPUTE_PGM_RSRC2:TGID_Z_EN: 0
; COMPUTE_PGM_RSRC2:TIDIG_COMP_CNT: 0
	.type	__hip_cuid_9fa06eb84a470441,@object ; @__hip_cuid_9fa06eb84a470441
	.section	.bss,"aw",@nobits
	.globl	__hip_cuid_9fa06eb84a470441
__hip_cuid_9fa06eb84a470441:
	.byte	0                               ; 0x0
	.size	__hip_cuid_9fa06eb84a470441, 1

	.ident	"AMD clang version 19.0.0git (https://github.com/RadeonOpenCompute/llvm-project roc-6.4.0 25133 c7fe45cf4b819c5991fe208aaa96edf142730f1d)"
	.section	".note.GNU-stack","",@progbits
	.addrsig
	.addrsig_sym __hip_cuid_9fa06eb84a470441
	.amdgpu_metadata
---
amdhsa.kernels:
  - .args:
      - .actual_access:  read_only
        .address_space:  global
        .offset:         0
        .size:           8
        .value_kind:     global_buffer
      - .actual_access:  read_only
        .address_space:  global
        .offset:         8
        .size:           8
        .value_kind:     global_buffer
      - .actual_access:  read_only
        .address_space:  global
        .offset:         16
        .size:           8
        .value_kind:     global_buffer
      - .actual_access:  read_only
        .address_space:  global
        .offset:         24
        .size:           8
        .value_kind:     global_buffer
      - .actual_access:  read_only
        .address_space:  global
        .offset:         32
        .size:           8
        .value_kind:     global_buffer
      - .offset:         40
        .size:           8
        .value_kind:     by_value
      - .address_space:  global
        .offset:         48
        .size:           8
        .value_kind:     global_buffer
      - .address_space:  global
        .offset:         56
        .size:           8
        .value_kind:     global_buffer
      - .address_space:  global
        .offset:         64
        .size:           8
        .value_kind:     global_buffer
      - .address_space:  global
        .offset:         72
        .size:           8
        .value_kind:     global_buffer
      - .offset:         80
        .size:           4
        .value_kind:     by_value
      - .address_space:  global
        .offset:         88
        .size:           8
        .value_kind:     global_buffer
      - .address_space:  global
        .offset:         96
        .size:           8
        .value_kind:     global_buffer
    .group_segment_fixed_size: 7920
    .kernarg_segment_align: 8
    .kernarg_segment_size: 104
    .language:       OpenCL C
    .language_version:
      - 2
      - 0
    .max_flat_workgroup_size: 99
    .name:           bluestein_single_fwd_len330_dim1_sp_op_CI_CI
    .private_segment_fixed_size: 0
    .sgpr_count:     24
    .sgpr_spill_count: 0
    .symbol:         bluestein_single_fwd_len330_dim1_sp_op_CI_CI.kd
    .uniform_work_group_size: 1
    .uses_dynamic_stack: false
    .vgpr_count:     149
    .vgpr_spill_count: 0
    .wavefront_size: 64
amdhsa.target:   amdgcn-amd-amdhsa--gfx906
amdhsa.version:
  - 1
  - 2
...

	.end_amdgpu_metadata
